;; amdgpu-corpus repo=ROCm/rocFFT kind=compiled arch=gfx906 opt=O3
	.text
	.amdgcn_target "amdgcn-amd-amdhsa--gfx906"
	.amdhsa_code_object_version 6
	.protected	bluestein_single_back_len6561_dim1_half_op_CI_CI ; -- Begin function bluestein_single_back_len6561_dim1_half_op_CI_CI
	.globl	bluestein_single_back_len6561_dim1_half_op_CI_CI
	.p2align	8
	.type	bluestein_single_back_len6561_dim1_half_op_CI_CI,@function
bluestein_single_back_len6561_dim1_half_op_CI_CI: ; @bluestein_single_back_len6561_dim1_half_op_CI_CI
; %bb.0:
	s_load_dwordx4 s[16:19], s[4:5], 0x28
	v_mul_u32_u24_e32 v3, 0x10e, v0
	v_add_u32_sdwa v226, s6, v3 dst_sel:DWORD dst_unused:UNUSED_PAD src0_sel:DWORD src1_sel:WORD_1
	v_mov_b32_e32 v227, 0
	s_waitcnt lgkmcnt(0)
	v_cmp_gt_u64_e32 vcc, s[16:17], v[226:227]
	s_and_saveexec_b64 s[0:1], vcc
	s_cbranch_execz .LBB0_2
; %bb.1:
	s_load_dwordx4 s[8:11], s[4:5], 0x18
	s_movk_i32 s7, 0xf3
	v_mul_lo_u16_sdwa v2, v3, s7 dst_sel:DWORD dst_unused:UNUSED_PAD src0_sel:WORD_1 src1_sel:DWORD
	v_sub_u16_e32 v162, v0, v2
	v_lshlrev_b32_e32 v129, 2, v162
	s_waitcnt lgkmcnt(0)
	s_load_dwordx4 s[12:15], s[8:9], 0x0
	s_movk_i32 s8, 0x4000
	v_add_u32_e32 v166, 0x25e0, v129
	v_add_u32_e32 v163, 0x780, v129
	;; [unrolled: 1-line block ×3, first 2 shown]
	s_waitcnt lgkmcnt(0)
	v_mad_u64_u32 v[2:3], s[0:1], s14, v226, 0
	v_mad_u64_u32 v[4:5], s[0:1], s12, v162, 0
	v_mov_b32_e32 v0, v3
	s_mul_i32 s6, s13, 0x222c
	v_mov_b32_e32 v3, v5
	v_mad_u64_u32 v[5:6], s[0:1], s15, v226, v[0:1]
	v_mad_u64_u32 v[6:7], s[0:1], s13, v162, v[3:4]
	v_mov_b32_e32 v3, v5
	v_lshlrev_b64 v[2:3], 2, v[2:3]
	s_load_dwordx4 s[0:3], s[4:5], 0x0
	v_mov_b32_e32 v0, s19
	v_mov_b32_e32 v5, v6
	v_add_co_u32_e32 v6, vcc, s18, v2
	v_addc_co_u32_e32 v0, vcc, v0, v3, vcc
	v_lshlrev_b64 v[2:3], 2, v[4:5]
	s_mul_hi_u32 s14, s12, 0x222c
	v_add_co_u32_e32 v2, vcc, v6, v2
	v_addc_co_u32_e32 v3, vcc, v0, v3, vcc
	s_waitcnt lgkmcnt(0)
	v_mov_b32_e32 v0, s1
	v_add_co_u32_e32 v173, vcc, s0, v129
	v_addc_co_u32_e32 v174, vcc, 0, v0, vcc
	s_add_i32 s14, s14, s6
	s_mul_i32 s15, s12, 0x222c
	global_load_dword v8, v[2:3], off
	v_mov_b32_e32 v4, s14
	v_add_co_u32_e32 v2, vcc, s15, v2
	v_addc_co_u32_e32 v3, vcc, v3, v4, vcc
	s_movk_i32 s6, 0x2000
	global_load_dword v0, v129, s[0:1]
	v_add_co_u32_e32 v4, vcc, s6, v173
	global_load_dword v9, v[2:3], off
	v_addc_co_u32_e32 v5, vcc, 0, v174, vcc
	global_load_dword v165, v[4:5], off offset:556
	v_mov_b32_e32 v6, s14
	v_add_co_u32_e32 v2, vcc, s15, v2
	v_addc_co_u32_e32 v3, vcc, v3, v6, vcc
	v_add_co_u32_e32 v6, vcc, s8, v173
	v_addc_co_u32_e32 v7, vcc, 0, v174, vcc
	global_load_dword v161, v[6:7], off offset:1112
	global_load_dword v10, v[2:3], off
	s_mul_hi_u32 s9, s12, 0xffffbf74
	s_mul_i32 s8, s13, 0xffffbf74
	s_sub_i32 s13, s9, s12
	s_add_i32 s13, s13, s8
	s_mulk_i32 s12, 0xbf74
	v_mov_b32_e32 v11, s13
	v_add_co_u32_e32 v2, vcc, s12, v2
	v_addc_co_u32_e32 v3, vcc, v3, v11, vcc
	global_load_dword v11, v[2:3], off
	global_load_dword v160, v129, s[0:1] offset:972
	v_mov_b32_e32 v12, s14
	v_add_co_u32_e32 v2, vcc, s15, v2
	v_addc_co_u32_e32 v3, vcc, v3, v12, vcc
	global_load_dword v12, v[2:3], off
	global_load_dword v159, v[4:5], off offset:1528
	v_mov_b32_e32 v13, s14
	v_add_co_u32_e32 v2, vcc, s15, v2
	v_addc_co_u32_e32 v3, vcc, v3, v13, vcc
	global_load_dword v13, v[2:3], off
	global_load_dword v158, v[6:7], off offset:2084
	v_mov_b32_e32 v14, s13
	v_add_co_u32_e32 v2, vcc, s12, v2
	v_addc_co_u32_e32 v3, vcc, v3, v14, vcc
	global_load_dword v14, v[2:3], off
	global_load_dword v156, v129, s[0:1] offset:1944
	s_load_dwordx4 s[8:11], s[10:11], 0x0
	global_load_dword v151, v129, s[0:1] offset:2916
	global_load_dword v144, v129, s[0:1] offset:3888
	global_load_dword v155, v[4:5], off offset:2500
	global_load_dword v150, v[4:5], off offset:3472
	v_add_co_u32_e32 v78, vcc, s7, v162
	v_add_co_u32_e32 v2, vcc, s15, v2
	s_movk_i32 s0, 0x1e6
	v_add_u32_e32 v1, 0x4800, v129
	v_add_u32_e32 v154, 0xf00, v129
	;; [unrolled: 1-line block ×8, first 2 shown]
	s_mov_b32 s1, 0xbaee
	v_add_u32_e32 v152, 0x5380, v129
	v_add_u32_e32 v140, 0x5b00, v129
	v_mov_b32_e32 v239, s3
	s_load_dwordx2 s[4:5], s[4:5], 0x38
	s_waitcnt vmcnt(17)
	v_lshrrev_b32_e32 v15, 16, v8
	s_waitcnt vmcnt(16)
	v_mul_f16_sdwa v16, v0, v8 dst_sel:DWORD dst_unused:UNUSED_PAD src0_sel:WORD_1 src1_sel:DWORD
	v_mul_f16_sdwa v17, v0, v15 dst_sel:DWORD dst_unused:UNUSED_PAD src0_sel:WORD_1 src1_sel:DWORD
	v_fma_f16 v15, v0, v15, -v16
	s_waitcnt vmcnt(15)
	v_lshrrev_b32_e32 v16, 16, v9
	v_fma_f16 v8, v0, v8, v17
	v_pack_b32_f16 v8, v8, v15
	s_waitcnt vmcnt(14)
	v_mul_f16_sdwa v4, v165, v16 dst_sel:DWORD dst_unused:UNUSED_PAD src0_sel:WORD_1 src1_sel:DWORD
	v_mul_f16_sdwa v5, v165, v9 dst_sel:DWORD dst_unused:UNUSED_PAD src0_sel:WORD_1 src1_sel:DWORD
	v_fma_f16 v4, v165, v9, v4
	v_fma_f16 v5, v165, v16, -v5
	v_pack_b32_f16 v4, v4, v5
	ds_write_b32 v129, v4 offset:8748
	global_load_dword v153, v[6:7], off offset:3056
	global_load_dword v148, v[6:7], off offset:4028
	;; [unrolled: 1-line block ×3, first 2 shown]
	s_waitcnt vmcnt(15)
	v_lshrrev_b32_e32 v4, 16, v10
	v_mul_f16_sdwa v6, v161, v10 dst_sel:DWORD dst_unused:UNUSED_PAD src0_sel:WORD_1 src1_sel:DWORD
	v_mul_f16_sdwa v5, v161, v4 dst_sel:DWORD dst_unused:UNUSED_PAD src0_sel:WORD_1 src1_sel:DWORD
	v_fma_f16 v4, v161, v4, -v6
	v_mov_b32_e32 v6, s14
	v_fma_f16 v5, v161, v10, v5
	v_addc_co_u32_e32 v3, vcc, v3, v6, vcc
	v_pack_b32_f16 v4, v5, v4
	global_load_dword v9, v[2:3], off
	ds_write_b32 v129, v4 offset:17496
	s_waitcnt vmcnt(15)
	v_lshrrev_b32_e32 v4, 16, v11
	s_waitcnt vmcnt(14)
	v_mul_f16_sdwa v5, v160, v4 dst_sel:DWORD dst_unused:UNUSED_PAD src0_sel:WORD_1 src1_sel:DWORD
	v_mul_f16_sdwa v6, v160, v11 dst_sel:DWORD dst_unused:UNUSED_PAD src0_sel:WORD_1 src1_sel:DWORD
	v_fma_f16 v5, v160, v11, v5
	v_fma_f16 v4, v160, v4, -v6
	v_mov_b32_e32 v6, s14
	v_add_co_u32_e32 v2, vcc, s15, v2
	v_addc_co_u32_e32 v3, vcc, v3, v6, vcc
	v_pack_b32_f16 v4, v5, v4
	global_load_dword v10, v[2:3], off
	ds_write2_b32 v129, v8, v4 offset1:243
	s_waitcnt vmcnt(14)
	v_lshrrev_b32_e32 v4, 16, v12
	v_mov_b32_e32 v6, s13
	v_add_co_u32_e32 v2, vcc, s12, v2
	s_waitcnt vmcnt(13)
	v_mul_f16_sdwa v5, v159, v4 dst_sel:DWORD dst_unused:UNUSED_PAD src0_sel:WORD_1 src1_sel:DWORD
	v_addc_co_u32_e32 v3, vcc, v3, v6, vcc
	v_mul_f16_sdwa v6, v159, v12 dst_sel:DWORD dst_unused:UNUSED_PAD src0_sel:WORD_1 src1_sel:DWORD
	v_fma_f16 v5, v159, v12, v5
	v_fma_f16 v4, v159, v4, -v6
	v_pack_b32_f16 v11, v5, v4
	s_waitcnt vmcnt(12)
	v_lshrrev_b32_e32 v4, 16, v13
	s_waitcnt vmcnt(11)
	v_mul_f16_sdwa v6, v158, v13 dst_sel:DWORD dst_unused:UNUSED_PAD src0_sel:WORD_1 src1_sel:DWORD
	global_load_dword v8, v[2:3], off
	v_mul_f16_sdwa v5, v158, v4 dst_sel:DWORD dst_unused:UNUSED_PAD src0_sel:WORD_1 src1_sel:DWORD
	v_fma_f16 v4, v158, v4, -v6
	v_mov_b32_e32 v6, s14
	v_add_co_u32_e32 v2, vcc, s15, v2
	v_addc_co_u32_e32 v3, vcc, v3, v6, vcc
	v_fma_f16 v5, v158, v13, v5
	global_load_dword v12, v[2:3], off
	v_add_co_u32_e32 v94, vcc, s0, v162
	v_pack_b32_f16 v13, v5, v4
	v_mov_b32_e32 v4, s14
	v_add_co_u32_e32 v2, vcc, s15, v2
	v_addc_co_u32_e32 v3, vcc, v3, v4, vcc
	global_load_dword v17, v[2:3], off
	v_mov_b32_e32 v4, s13
	v_add_co_u32_e32 v2, vcc, s12, v2
	v_addc_co_u32_e32 v3, vcc, v3, v4, vcc
	global_load_dword v18, v[2:3], off
	v_mov_b32_e32 v4, s14
	v_add_co_u32_e32 v2, vcc, s15, v2
	v_addc_co_u32_e32 v3, vcc, v3, v4, vcc
	s_movk_i32 s0, 0x3000
	v_add_co_u32_e32 v4, vcc, s0, v173
	global_load_dword v19, v[2:3], off
	v_addc_co_u32_e32 v5, vcc, 0, v174, vcc
	global_load_dword v149, v[4:5], off offset:348
	v_add_co_u32_e32 v2, vcc, s15, v2
	v_addc_co_u32_e32 v3, vcc, v3, v6, vcc
	s_movk_i32 s0, 0x5000
	v_add_co_u32_e32 v6, vcc, s0, v173
	global_load_dword v20, v[2:3], off
	v_addc_co_u32_e32 v7, vcc, 0, v174, vcc
	global_load_dword v146, v[6:7], off offset:904
	s_waitcnt vmcnt(18)
	v_lshrrev_b32_e32 v15, 16, v14
	s_waitcnt vmcnt(17)
	v_mul_f16_sdwa v16, v156, v15 dst_sel:DWORD dst_unused:UNUSED_PAD src0_sel:WORD_1 src1_sel:DWORD
	v_fma_f16 v16, v156, v14, v16
	v_mul_f16_sdwa v14, v156, v14 dst_sel:DWORD dst_unused:UNUSED_PAD src0_sel:WORD_1 src1_sel:DWORD
	v_fma_f16 v14, v156, v15, -v14
	s_waitcnt vmcnt(9)
	v_lshrrev_b32_e32 v15, 16, v9
	v_pack_b32_f16 v14, v16, v14
	v_mul_f16_sdwa v16, v155, v15 dst_sel:DWORD dst_unused:UNUSED_PAD src0_sel:WORD_1 src1_sel:DWORD
	v_fma_f16 v16, v155, v9, v16
	v_mul_f16_sdwa v9, v155, v9 dst_sel:DWORD dst_unused:UNUSED_PAD src0_sel:WORD_1 src1_sel:DWORD
	v_fma_f16 v9, v155, v15, -v9
	v_pack_b32_f16 v9, v16, v9
	ds_write2_b32 v166, v11, v9 offset0:6 offset1:249
	s_movk_i32 s0, 0x2d9
	v_add_co_u32_e32 v110, vcc, s0, v162
	v_add_co_u32_e32 v2, vcc, s12, v2
	s_waitcnt vmcnt(8)
	v_lshrrev_b32_e32 v9, 16, v10
	v_mul_f16_sdwa v11, v153, v9 dst_sel:DWORD dst_unused:UNUSED_PAD src0_sel:WORD_1 src1_sel:DWORD
	v_fma_f16 v11, v153, v10, v11
	v_mul_f16_sdwa v10, v153, v10 dst_sel:DWORD dst_unused:UNUSED_PAD src0_sel:WORD_1 src1_sel:DWORD
	v_fma_f16 v9, v153, v9, -v10
	v_pack_b32_f16 v9, v11, v9
	ds_write2_b32 v1, v13, v9 offset0:9 offset1:252
	s_movk_i32 s0, 0x1000
	v_add_u32_e32 v1, 0x4fa0, v129
	v_mov_b32_e32 v16, s13
	s_waitcnt vmcnt(7)
	v_lshrrev_b32_e32 v9, 16, v8
	v_mul_f16_sdwa v10, v151, v9 dst_sel:DWORD dst_unused:UNUSED_PAD src0_sel:WORD_1 src1_sel:DWORD
	v_fma_f16 v10, v151, v8, v10
	v_mul_f16_sdwa v8, v151, v8 dst_sel:DWORD dst_unused:UNUSED_PAD src0_sel:WORD_1 src1_sel:DWORD
	v_fma_f16 v8, v151, v9, -v8
	v_pack_b32_f16 v8, v10, v8
	ds_write2_b32 v163, v14, v8 offset0:6 offset1:249
	v_mov_b32_e32 v9, s13
	v_addc_co_u32_e32 v3, vcc, v3, v9, vcc
	s_waitcnt vmcnt(6)
	v_lshrrev_b32_e32 v11, 16, v12
	v_mul_f16_sdwa v13, v150, v11 dst_sel:DWORD dst_unused:UNUSED_PAD src0_sel:WORD_1 src1_sel:DWORD
	v_fma_f16 v13, v150, v12, v13
	v_mul_f16_sdwa v12, v150, v12 dst_sel:DWORD dst_unused:UNUSED_PAD src0_sel:WORD_1 src1_sel:DWORD
	v_fma_f16 v11, v150, v11, -v12
	v_pack_b32_f16 v11, v13, v11
	v_add_co_u32_e32 v8, vcc, s0, v173
	s_waitcnt vmcnt(5)
	v_lshrrev_b32_e32 v12, 16, v17
	v_mul_f16_sdwa v13, v148, v12 dst_sel:DWORD dst_unused:UNUSED_PAD src0_sel:WORD_1 src1_sel:DWORD
	v_mul_f16_sdwa v14, v148, v17 dst_sel:DWORD dst_unused:UNUSED_PAD src0_sel:WORD_1 src1_sel:DWORD
	v_fma_f16 v13, v148, v17, v13
	v_fma_f16 v12, v148, v12, -v14
	v_pack_b32_f16 v12, v13, v12
	s_waitcnt vmcnt(4)
	v_lshrrev_b32_e32 v13, 16, v18
	v_mul_f16_sdwa v14, v144, v13 dst_sel:DWORD dst_unused:UNUSED_PAD src0_sel:WORD_1 src1_sel:DWORD
	v_mul_f16_sdwa v15, v144, v18 dst_sel:DWORD dst_unused:UNUSED_PAD src0_sel:WORD_1 src1_sel:DWORD
	v_fma_f16 v14, v144, v18, v14
	v_fma_f16 v13, v144, v13, -v15
	v_addc_co_u32_e32 v9, vcc, 0, v174, vcc
	global_load_dword v145, v[8:9], off offset:764
	v_pack_b32_f16 v13, v14, v13
	s_waitcnt vmcnt(4)
	v_lshrrev_b32_e32 v14, 16, v19
	global_load_dword v10, v[2:3], off
	global_load_dword v143, v[4:5], off offset:1320
	global_load_dword v138, v[4:5], off offset:2292
	;; [unrolled: 1-line block ×3, first 2 shown]
	s_waitcnt vmcnt(7)
	v_mul_f16_sdwa v4, v149, v14 dst_sel:DWORD dst_unused:UNUSED_PAD src0_sel:WORD_1 src1_sel:DWORD
	v_mul_f16_sdwa v5, v149, v19 dst_sel:DWORD dst_unused:UNUSED_PAD src0_sel:WORD_1 src1_sel:DWORD
	v_fma_f16 v4, v149, v19, v4
	v_fma_f16 v5, v149, v14, -v5
	v_pack_b32_f16 v4, v4, v5
	ds_write2_b32 v157, v11, v4 offset0:4 offset1:247
	global_load_dword v141, v[6:7], off offset:1876
	global_load_dword v137, v[6:7], off offset:2848
	;; [unrolled: 1-line block ×3, first 2 shown]
	s_movk_i32 s0, 0x3cc
	s_waitcnt vmcnt(9)
	v_lshrrev_b32_e32 v4, 16, v20
	v_add_co_u32_e32 v112, vcc, s0, v162
	s_waitcnt vmcnt(8)
	v_mul_f16_sdwa v5, v146, v4 dst_sel:DWORD dst_unused:UNUSED_PAD src0_sel:WORD_1 src1_sel:DWORD
	v_mul_f16_sdwa v6, v146, v20 dst_sel:DWORD dst_unused:UNUSED_PAD src0_sel:WORD_1 src1_sel:DWORD
	v_fma_f16 v5, v146, v20, v5
	v_fma_f16 v4, v146, v4, -v6
	v_pack_b32_f16 v4, v5, v4
	ds_write2_b32 v1, v12, v4 offset0:7 offset1:250
	v_mov_b32_e32 v4, s14
	v_add_co_u32_e32 v2, vcc, s15, v2
	v_addc_co_u32_e32 v3, vcc, v3, v4, vcc
	global_load_dword v4, v[2:3], off
	v_mov_b32_e32 v5, s14
	v_add_co_u32_e32 v2, vcc, s15, v2
	v_addc_co_u32_e32 v3, vcc, v3, v5, vcc
	s_movk_i32 s0, 0x4bf
	global_load_dword v5, v[2:3], off
	v_add_co_u32_e32 v114, vcc, s0, v162
	v_mov_b32_e32 v6, s13
	v_add_co_u32_e32 v2, vcc, s12, v2
	v_addc_co_u32_e32 v3, vcc, v3, v6, vcc
	global_load_dword v6, v[2:3], off
	global_load_dword v139, v[8:9], off offset:1736
	v_mov_b32_e32 v7, s14
	v_add_co_u32_e32 v2, vcc, s15, v2
	v_addc_co_u32_e32 v3, vcc, v3, v7, vcc
	global_load_dword v7, v[2:3], off
	v_mov_b32_e32 v12, s14
	v_add_co_u32_e32 v2, vcc, s15, v2
	v_addc_co_u32_e32 v3, vcc, v3, v12, vcc
	global_load_dword v12, v[2:3], off
	global_load_dword v135, v[8:9], off offset:2708
	global_load_dword v132, v[8:9], off offset:3680
	v_mov_b32_e32 v9, s13
	v_add_co_u32_e32 v2, vcc, s12, v2
	v_addc_co_u32_e32 v3, vcc, v3, v9, vcc
	global_load_dword v9, v[2:3], off
	v_mov_b32_e32 v14, s14
	v_add_co_u32_e32 v2, vcc, s15, v2
	v_addc_co_u32_e32 v3, vcc, v3, v14, vcc
	global_load_dword v14, v[2:3], off
	;; [unrolled: 4-line block ×3, first 2 shown]
	v_add_co_u32_e32 v2, vcc, s12, v2
	v_addc_co_u32_e32 v3, vcc, v3, v16, vcc
	global_load_dword v16, v[2:3], off
	v_mov_b32_e32 v17, s14
	v_add_co_u32_e32 v2, vcc, s15, v2
	v_addc_co_u32_e32 v3, vcc, v3, v17, vcc
	global_load_dword v17, v[2:3], off
	v_mov_b32_e32 v18, s14
	v_add_co_u32_e32 v2, vcc, s15, v2
	v_addc_co_u32_e32 v3, vcc, v3, v18, vcc
	s_movk_i32 s0, 0x6000
	v_add_co_u32_e32 v66, vcc, s0, v173
	global_load_dword v2, v[2:3], off
	v_addc_co_u32_e32 v67, vcc, 0, v174, vcc
	global_load_dword v131, v[66:67], off offset:696
	s_waitcnt vmcnt(21)
	v_lshrrev_b32_e32 v11, 16, v10
	v_mul_f16_sdwa v8, v145, v11 dst_sel:DWORD dst_unused:UNUSED_PAD src0_sel:WORD_1 src1_sel:DWORD
	v_mul_f16_sdwa v3, v145, v10 dst_sel:DWORD dst_unused:UNUSED_PAD src0_sel:WORD_1 src1_sel:DWORD
	v_fma_f16 v8, v145, v10, v8
	v_fma_f16 v3, v145, v11, -v3
	v_pack_b32_f16 v3, v8, v3
	ds_write2_b32 v154, v13, v3 offset0:12 offset1:255
	v_add_u32_e32 v1, 0x5740, v129
	s_movk_i32 s0, 0x5b2
	v_add_co_u32_e32 v235, vcc, s0, v162
	s_waitcnt vmcnt(14)
	v_lshrrev_b32_e32 v3, 16, v4
	v_mul_f16_sdwa v8, v143, v3 dst_sel:DWORD dst_unused:UNUSED_PAD src0_sel:WORD_1 src1_sel:DWORD
	v_fma_f16 v8, v143, v4, v8
	v_mul_f16_sdwa v4, v143, v4 dst_sel:DWORD dst_unused:UNUSED_PAD src0_sel:WORD_1 src1_sel:DWORD
	v_fma_f16 v3, v143, v3, -v4
	v_pack_b32_f16 v3, v8, v3
	s_movk_i32 s0, 0x6a5
	s_waitcnt vmcnt(13)
	v_lshrrev_b32_e32 v4, 16, v5
	v_mul_f16_sdwa v8, v141, v4 dst_sel:DWORD dst_unused:UNUSED_PAD src0_sel:WORD_1 src1_sel:DWORD
	v_fma_f16 v8, v141, v5, v8
	v_mul_f16_sdwa v5, v141, v5 dst_sel:DWORD dst_unused:UNUSED_PAD src0_sel:WORD_1 src1_sel:DWORD
	v_fma_f16 v4, v141, v4, -v5
	v_pack_b32_f16 v4, v8, v4
	v_add_co_u32_e32 v119, vcc, s0, v162
	s_waitcnt vmcnt(12)
	v_lshrrev_b32_e32 v5, 16, v6
	s_waitcnt vmcnt(11)
	v_mul_f16_sdwa v8, v139, v5 dst_sel:DWORD dst_unused:UNUSED_PAD src0_sel:WORD_1 src1_sel:DWORD
	v_fma_f16 v8, v139, v6, v8
	v_mul_f16_sdwa v6, v139, v6 dst_sel:DWORD dst_unused:UNUSED_PAD src0_sel:WORD_1 src1_sel:DWORD
	v_fma_f16 v5, v139, v5, -v6
	v_pack_b32_f16 v5, v8, v5
	s_waitcnt vmcnt(10)
	v_lshrrev_b32_e32 v6, 16, v7
	v_mul_f16_sdwa v8, v138, v6 dst_sel:DWORD dst_unused:UNUSED_PAD src0_sel:WORD_1 src1_sel:DWORD
	v_fma_f16 v8, v138, v7, v8
	v_mul_f16_sdwa v7, v138, v7 dst_sel:DWORD dst_unused:UNUSED_PAD src0_sel:WORD_1 src1_sel:DWORD
	v_fma_f16 v6, v138, v6, -v7
	v_pack_b32_f16 v6, v8, v6
	ds_write2_b32 v147, v3, v6 offset0:10 offset1:253
	s_waitcnt vmcnt(9)
	v_lshrrev_b32_e32 v3, 16, v12
	v_mul_f16_sdwa v6, v137, v3 dst_sel:DWORD dst_unused:UNUSED_PAD src0_sel:WORD_1 src1_sel:DWORD
	v_mul_f16_sdwa v7, v137, v12 dst_sel:DWORD dst_unused:UNUSED_PAD src0_sel:WORD_1 src1_sel:DWORD
	v_fma_f16 v6, v137, v12, v6
	v_fma_f16 v3, v137, v3, -v7
	v_pack_b32_f16 v3, v6, v3
	ds_write2_b32 v1, v4, v3 offset0:5 offset1:248
	s_waitcnt vmcnt(6)
	v_lshrrev_b32_e32 v3, 16, v9
	v_mul_f16_sdwa v4, v135, v3 dst_sel:DWORD dst_unused:UNUSED_PAD src0_sel:WORD_1 src1_sel:DWORD
	v_mul_f16_sdwa v6, v135, v9 dst_sel:DWORD dst_unused:UNUSED_PAD src0_sel:WORD_1 src1_sel:DWORD
	v_fma_f16 v4, v135, v9, v4
	;; [unrolled: 8-line block ×3, first 2 shown]
	v_fma_f16 v3, v134, v3, -v5
	v_pack_b32_f16 v3, v4, v3
	s_waitcnt vmcnt(4)
	v_lshrrev_b32_e32 v4, 16, v15
	v_mul_f16_sdwa v5, v133, v4 dst_sel:DWORD dst_unused:UNUSED_PAD src0_sel:WORD_1 src1_sel:DWORD
	v_mul_f16_sdwa v6, v133, v15 dst_sel:DWORD dst_unused:UNUSED_PAD src0_sel:WORD_1 src1_sel:DWORD
	v_fma_f16 v5, v133, v15, v5
	v_fma_f16 v4, v133, v4, -v6
	v_pack_b32_f16 v4, v5, v4
	s_waitcnt vmcnt(3)
	v_lshrrev_b32_e32 v5, 16, v16
	v_mul_f16_sdwa v6, v132, v5 dst_sel:DWORD dst_unused:UNUSED_PAD src0_sel:WORD_1 src1_sel:DWORD
	v_mul_f16_sdwa v7, v132, v16 dst_sel:DWORD dst_unused:UNUSED_PAD src0_sel:WORD_1 src1_sel:DWORD
	v_fma_f16 v6, v132, v16, v6
	v_fma_f16 v5, v132, v5, -v7
	v_pack_b32_f16 v5, v6, v5
	ds_write_b32 v129, v5 offset:7776
	s_waitcnt vmcnt(2)
	v_lshrrev_b32_e32 v5, 16, v17
	v_mul_f16_sdwa v6, v130, v5 dst_sel:DWORD dst_unused:UNUSED_PAD src0_sel:WORD_1 src1_sel:DWORD
	v_mul_f16_sdwa v7, v130, v17 dst_sel:DWORD dst_unused:UNUSED_PAD src0_sel:WORD_1 src1_sel:DWORD
	v_fma_f16 v6, v130, v17, v6
	v_fma_f16 v5, v130, v5, -v7
	v_pack_b32_f16 v5, v6, v5
	ds_write2_b32 v136, v3, v5 offset1:243
	s_waitcnt vmcnt(1)
	v_lshrrev_b32_e32 v3, 16, v2
	s_waitcnt vmcnt(0)
	v_mul_f16_sdwa v5, v131, v3 dst_sel:DWORD dst_unused:UNUSED_PAD src0_sel:WORD_1 src1_sel:DWORD
	v_fma_f16 v5, v131, v2, v5
	v_mul_f16_sdwa v2, v131, v2 dst_sel:DWORD dst_unused:UNUSED_PAD src0_sel:WORD_1 src1_sel:DWORD
	v_fma_f16 v2, v131, v3, -v2
	v_pack_b32_f16 v2, v5, v2
	v_add_u32_e32 v1, 0x5ec0, v129
	ds_write2_b32 v1, v4, v2 offset0:11 offset1:254
	s_waitcnt lgkmcnt(0)
	s_barrier
	ds_read2_b32 v[2:3], v129 offset1:243
	ds_read2_b32 v[4:5], v170 offset0:8 offset1:251
	ds_read2_b32 v[6:7], v163 offset0:6 offset1:249
	;; [unrolled: 1-line block ×4, first 2 shown]
	s_movk_i32 s0, 0x798
	ds_read2_b32 v[14:15], v164 offset0:12 offset1:255
	v_add_co_u32_e32 v234, vcc, s0, v162
	s_waitcnt lgkmcnt(2)
	v_add_f16_e32 v39, v5, v8
	v_lshrrev_b32_e32 v28, 16, v2
	v_add_f16_e32 v38, v2, v5
	v_fma_f16 v2, v39, -0.5, v2
	v_sub_f16_sdwa v39, v5, v8 dst_sel:DWORD dst_unused:UNUSED_PAD src0_sel:WORD_1 src1_sel:WORD_1
	s_movk_i32 s0, 0x3aee
	v_add_f16_sdwa v41, v5, v8 dst_sel:DWORD dst_unused:UNUSED_PAD src0_sel:WORD_1 src1_sel:WORD_1
	ds_read2_b32 v[16:17], v157 offset0:4 offset1:247
	v_fma_f16 v40, v39, s0, v2
	v_fma_f16 v2, v39, s1, v2
	v_add_f16_sdwa v39, v28, v5 dst_sel:DWORD dst_unused:UNUSED_PAD src0_sel:DWORD src1_sel:WORD_1
	v_fma_f16 v28, v41, -0.5, v28
	v_sub_f16_e32 v5, v5, v8
	s_waitcnt lgkmcnt(2)
	v_add_f16_e32 v41, v10, v9
	v_lshrrev_b32_e32 v29, 16, v3
	v_add_f16_e32 v38, v38, v8
	v_add_f16_sdwa v39, v39, v8 dst_sel:DWORD dst_unused:UNUSED_PAD src0_sel:DWORD src1_sel:WORD_1
	v_fma_f16 v8, v5, s1, v28
	v_fma_f16 v5, v5, s0, v28
	v_add_f16_e32 v28, v3, v10
	v_fma_f16 v3, v41, -0.5, v3
	v_sub_f16_sdwa v41, v10, v9 dst_sel:DWORD dst_unused:UNUSED_PAD src0_sel:WORD_1 src1_sel:WORD_1
	v_fma_f16 v42, v41, s0, v3
	v_fma_f16 v3, v41, s1, v3
	v_add_f16_sdwa v41, v29, v10 dst_sel:DWORD dst_unused:UNUSED_PAD src0_sel:DWORD src1_sel:WORD_1
	v_add_f16_sdwa v43, v10, v9 dst_sel:DWORD dst_unused:UNUSED_PAD src0_sel:WORD_1 src1_sel:WORD_1
	ds_read2_b32 v[20:21], v152 offset0:2 offset1:245
	v_add_f16_e32 v28, v28, v9
	v_add_f16_sdwa v41, v41, v9 dst_sel:DWORD dst_unused:UNUSED_PAD src0_sel:DWORD src1_sel:WORD_1
	v_fma_f16 v29, v43, -0.5, v29
	v_sub_f16_e32 v9, v10, v9
	s_waitcnt lgkmcnt(2)
	v_add_f16_e32 v43, v11, v14
	v_lshrrev_b32_e32 v30, 16, v6
	ds_read2_b32 v[12:13], v154 offset0:12 offset1:255
	v_fma_f16 v10, v9, s1, v29
	v_fma_f16 v9, v9, s0, v29
	v_add_f16_e32 v29, v6, v11
	v_fma_f16 v6, v43, -0.5, v6
	v_sub_f16_sdwa v43, v11, v14 dst_sel:DWORD dst_unused:UNUSED_PAD src0_sel:WORD_1 src1_sel:WORD_1
	v_add_f16_sdwa v45, v11, v14 dst_sel:DWORD dst_unused:UNUSED_PAD src0_sel:WORD_1 src1_sel:WORD_1
	ds_read2_b32 v[22:23], v147 offset0:10 offset1:253
	v_fma_f16 v44, v43, s0, v6
	v_fma_f16 v6, v43, s1, v6
	v_add_f16_sdwa v43, v30, v11 dst_sel:DWORD dst_unused:UNUSED_PAD src0_sel:DWORD src1_sel:WORD_1
	v_fma_f16 v30, v45, -0.5, v30
	v_sub_f16_e32 v11, v11, v14
	s_waitcnt lgkmcnt(3)
	v_add_f16_e32 v45, v16, v15
	v_lshrrev_b32_e32 v31, 16, v7
	v_add_f16_e32 v29, v29, v14
	v_add_f16_sdwa v43, v43, v14 dst_sel:DWORD dst_unused:UNUSED_PAD src0_sel:DWORD src1_sel:WORD_1
	v_fma_f16 v14, v11, s1, v30
	v_fma_f16 v11, v11, s0, v30
	v_add_f16_e32 v30, v7, v16
	v_fma_f16 v7, v45, -0.5, v7
	v_sub_f16_sdwa v45, v16, v15 dst_sel:DWORD dst_unused:UNUSED_PAD src0_sel:WORD_1 src1_sel:WORD_1
	v_fma_f16 v46, v45, s0, v7
	v_fma_f16 v7, v45, s1, v7
	v_add_f16_sdwa v45, v31, v16 dst_sel:DWORD dst_unused:UNUSED_PAD src0_sel:DWORD src1_sel:WORD_1
	v_add_f16_sdwa v47, v16, v15 dst_sel:DWORD dst_unused:UNUSED_PAD src0_sel:WORD_1 src1_sel:WORD_1
	ds_read2_b32 v[24:25], v140 offset0:8 offset1:251
	v_add_f16_e32 v30, v30, v15
	v_add_f16_sdwa v45, v45, v15 dst_sel:DWORD dst_unused:UNUSED_PAD src0_sel:DWORD src1_sel:WORD_1
	v_fma_f16 v31, v47, -0.5, v31
	v_sub_f16_e32 v15, v16, v15
	s_waitcnt lgkmcnt(3)
	v_add_f16_e32 v47, v17, v20
	s_waitcnt lgkmcnt(2)
	v_lshrrev_b32_e32 v32, 16, v12
	ds_read2_b32 v[18:19], v142 offset0:2 offset1:245
	v_fma_f16 v16, v15, s1, v31
	v_fma_f16 v15, v15, s0, v31
	v_add_f16_e32 v31, v12, v17
	v_fma_f16 v12, v47, -0.5, v12
	v_sub_f16_sdwa v47, v17, v20 dst_sel:DWORD dst_unused:UNUSED_PAD src0_sel:WORD_1 src1_sel:WORD_1
	v_add_f16_sdwa v49, v17, v20 dst_sel:DWORD dst_unused:UNUSED_PAD src0_sel:WORD_1 src1_sel:WORD_1
	ds_read2_b32 v[26:27], v136 offset1:243
	v_fma_f16 v48, v47, s0, v12
	v_fma_f16 v12, v47, s1, v12
	v_add_f16_sdwa v47, v32, v17 dst_sel:DWORD dst_unused:UNUSED_PAD src0_sel:DWORD src1_sel:WORD_1
	v_fma_f16 v32, v49, -0.5, v32
	v_sub_f16_e32 v17, v17, v20
	s_waitcnt lgkmcnt(3)
	v_add_f16_e32 v49, v22, v21
	v_lshrrev_b32_e32 v33, 16, v13
	v_add_f16_e32 v31, v31, v20
	v_add_f16_sdwa v47, v47, v20 dst_sel:DWORD dst_unused:UNUSED_PAD src0_sel:DWORD src1_sel:WORD_1
	v_fma_f16 v20, v17, s1, v32
	v_fma_f16 v17, v17, s0, v32
	v_add_f16_e32 v32, v13, v22
	v_fma_f16 v13, v49, -0.5, v13
	v_sub_f16_sdwa v49, v22, v21 dst_sel:DWORD dst_unused:UNUSED_PAD src0_sel:WORD_1 src1_sel:WORD_1
	v_fma_f16 v50, v49, s0, v13
	v_fma_f16 v13, v49, s1, v13
	v_add_f16_sdwa v49, v33, v22 dst_sel:DWORD dst_unused:UNUSED_PAD src0_sel:DWORD src1_sel:WORD_1
	v_add_f16_sdwa v51, v22, v21 dst_sel:DWORD dst_unused:UNUSED_PAD src0_sel:WORD_1 src1_sel:WORD_1
	ds_read_b32 v37, v129 offset:25272
	v_add_f16_e32 v32, v32, v21
	v_add_f16_sdwa v49, v49, v21 dst_sel:DWORD dst_unused:UNUSED_PAD src0_sel:DWORD src1_sel:WORD_1
	v_fma_f16 v33, v51, -0.5, v33
	v_sub_f16_e32 v21, v22, v21
	s_waitcnt lgkmcnt(3)
	v_add_f16_e32 v51, v23, v24
	s_waitcnt lgkmcnt(2)
	v_lshrrev_b32_e32 v34, 16, v18
	v_fma_f16 v22, v21, s1, v33
	v_fma_f16 v21, v21, s0, v33
	v_add_f16_e32 v33, v18, v23
	v_fma_f16 v18, v51, -0.5, v18
	v_sub_f16_sdwa v51, v23, v24 dst_sel:DWORD dst_unused:UNUSED_PAD src0_sel:WORD_1 src1_sel:WORD_1
	v_add_f16_sdwa v53, v23, v24 dst_sel:DWORD dst_unused:UNUSED_PAD src0_sel:WORD_1 src1_sel:WORD_1
	v_fma_f16 v52, v51, s0, v18
	v_fma_f16 v18, v51, s1, v18
	v_add_f16_sdwa v51, v34, v23 dst_sel:DWORD dst_unused:UNUSED_PAD src0_sel:DWORD src1_sel:WORD_1
	v_fma_f16 v34, v53, -0.5, v34
	v_sub_f16_e32 v23, v23, v24
	s_waitcnt lgkmcnt(1)
	v_add_f16_e32 v53, v26, v25
	v_lshrrev_b32_e32 v35, 16, v19
	v_add_f16_e32 v33, v33, v24
	v_add_f16_sdwa v51, v51, v24 dst_sel:DWORD dst_unused:UNUSED_PAD src0_sel:DWORD src1_sel:WORD_1
	v_fma_f16 v24, v23, s1, v34
	v_fma_f16 v23, v23, s0, v34
	v_add_f16_e32 v34, v19, v26
	v_fma_f16 v19, v53, -0.5, v19
	v_sub_f16_sdwa v53, v26, v25 dst_sel:DWORD dst_unused:UNUSED_PAD src0_sel:WORD_1 src1_sel:WORD_1
	v_fma_f16 v54, v53, s0, v19
	v_fma_f16 v19, v53, s1, v19
	v_add_f16_sdwa v53, v35, v26 dst_sel:DWORD dst_unused:UNUSED_PAD src0_sel:DWORD src1_sel:WORD_1
	v_add_f16_sdwa v55, v26, v25 dst_sel:DWORD dst_unused:UNUSED_PAD src0_sel:WORD_1 src1_sel:WORD_1
	v_add_f16_e32 v34, v34, v25
	v_add_f16_sdwa v53, v53, v25 dst_sel:DWORD dst_unused:UNUSED_PAD src0_sel:DWORD src1_sel:WORD_1
	v_fma_f16 v35, v55, -0.5, v35
	v_sub_f16_e32 v25, v26, v25
	s_waitcnt lgkmcnt(0)
	v_add_f16_e32 v55, v27, v37
	v_lshrrev_b32_e32 v36, 16, v4
	v_fma_f16 v26, v25, s1, v35
	v_fma_f16 v25, v25, s0, v35
	v_add_f16_e32 v35, v4, v27
	v_fma_f16 v4, v55, -0.5, v4
	v_sub_f16_sdwa v55, v27, v37 dst_sel:DWORD dst_unused:UNUSED_PAD src0_sel:WORD_1 src1_sel:WORD_1
	v_add_f16_sdwa v57, v27, v37 dst_sel:DWORD dst_unused:UNUSED_PAD src0_sel:WORD_1 src1_sel:WORD_1
	v_fma_f16 v56, v55, s0, v4
	v_fma_f16 v4, v55, s1, v4
	v_add_f16_sdwa v55, v36, v27 dst_sel:DWORD dst_unused:UNUSED_PAD src0_sel:DWORD src1_sel:WORD_1
	v_fma_f16 v36, v57, -0.5, v36
	v_sub_f16_e32 v27, v27, v37
	v_add_f16_e32 v35, v35, v37
	v_add_f16_sdwa v55, v55, v37 dst_sel:DWORD dst_unused:UNUSED_PAD src0_sel:DWORD src1_sel:WORD_1
	v_fma_f16 v37, v27, s1, v36
	v_fma_f16 v27, v27, s0, v36
	v_mul_lo_u16_e32 v36, 3, v162
	v_lshlrev_b32_e32 v189, 2, v36
	v_pack_b32_f16 v2, v2, v5
	s_barrier
	ds_write_b32 v189, v2 offset:8
	v_mul_u32_u24_e32 v2, 3, v78
	v_pack_b32_f16 v8, v40, v8
	v_pack_b32_f16 v36, v38, v39
	v_lshlrev_b32_e32 v188, 2, v2
	v_pack_b32_f16 v2, v42, v10
	v_pack_b32_f16 v5, v28, v41
	ds_write2_b32 v189, v36, v8 offset1:1
	ds_write2_b32 v188, v5, v2 offset1:1
	v_pack_b32_f16 v2, v3, v9
	ds_write_b32 v188, v2 offset:8
	v_mul_u32_u24_e32 v2, 3, v94
	v_lshlrev_b32_e32 v187, 2, v2
	v_pack_b32_f16 v2, v44, v14
	v_pack_b32_f16 v3, v29, v43
	ds_write2_b32 v187, v3, v2 offset1:1
	v_pack_b32_f16 v2, v6, v11
	ds_write_b32 v187, v2 offset:8
	v_mul_u32_u24_e32 v2, 3, v110
	v_lshlrev_b32_e32 v186, 2, v2
	v_pack_b32_f16 v2, v46, v16
	v_pack_b32_f16 v3, v30, v45
	;; [unrolled: 7-line block ×7, first 2 shown]
	ds_write2_b32 v180, v3, v2 offset1:1
	v_pack_b32_f16 v2, v4, v27
	s_movk_i32 s12, 0xab
	ds_write_b32 v180, v2 offset:8
	v_mul_lo_u16_sdwa v2, v162, s12 dst_sel:DWORD dst_unused:UNUSED_PAD src0_sel:BYTE_0 src1_sel:DWORD
	v_lshrrev_b16_e32 v20, 9, v2
	v_mul_lo_u16_e32 v2, 3, v20
	v_sub_u16_e32 v2, v162, v2
	v_and_b32_e32 v21, 0xff, v2
	v_lshlrev_b32_e32 v2, 3, v21
	s_waitcnt lgkmcnt(0)
	s_barrier
	global_load_dwordx2 v[2:3], v2, s[2:3]
	s_mov_b32 s12, 0xaaab
	v_mul_u32_u24_sdwa v4, v78, s12 dst_sel:DWORD dst_unused:UNUSED_PAD src0_sel:WORD_0 src1_sel:DWORD
	v_mul_u32_u24_sdwa v5, v94, s12 dst_sel:DWORD dst_unused:UNUSED_PAD src0_sel:WORD_0 src1_sel:DWORD
	v_lshrrev_b32_e32 v51, 17, v4
	v_lshrrev_b32_e32 v53, 17, v5
	v_mul_lo_u16_e32 v4, 3, v51
	v_mul_lo_u16_e32 v5, 3, v53
	v_sub_u16_e32 v52, v78, v4
	v_sub_u16_e32 v54, v94, v5
	v_lshlrev_b16_e32 v4, 1, v52
	v_lshlrev_b16_e32 v6, 1, v54
	ds_read2_b32 v[27:28], v129 offset1:243
	ds_read2_b32 v[10:11], v170 offset0:8 offset1:251
	ds_read2_b32 v[29:30], v167 offset0:6 offset1:249
	v_lshlrev_b32_e32 v4, 2, v4
	v_lshlrev_b32_e32 v14, 2, v6
	v_mul_u32_u24_sdwa v6, v110, s12 dst_sel:DWORD dst_unused:UNUSED_PAD src0_sel:WORD_0 src1_sel:DWORD
	ds_read2_b32 v[31:32], v166 offset0:6 offset1:249
	ds_read_b32 v22, v129 offset:25272
	global_load_dwordx2 v[4:5], v4, s[2:3]
	v_lshrrev_b32_e32 v55, 17, v6
	v_mul_lo_u16_e32 v6, 3, v55
	v_sub_u16_e32 v56, v110, v6
	s_waitcnt lgkmcnt(3)
	v_lshrrev_b32_e32 v12, 16, v11
	v_lshlrev_b16_e32 v6, 1, v56
	v_lshlrev_b32_e32 v15, 2, v6
	global_load_dwordx2 v[6:7], v14, s[2:3]
	global_load_dwordx2 v[8:9], v15, s[2:3]
	s_waitcnt lgkmcnt(2)
	v_lshrrev_b32_e32 v13, 16, v29
	v_lshrrev_b32_e32 v33, 16, v27
	v_mul_u32_u24_e32 v20, 9, v20
	v_add_lshl_u32 v175, v20, v21, 2
	s_waitcnt vmcnt(3)
	v_mul_f16_sdwa v14, v12, v2 dst_sel:DWORD dst_unused:UNUSED_PAD src0_sel:DWORD src1_sel:WORD_1
	v_fma_f16 v34, v11, v2, -v14
	v_mul_f16_sdwa v11, v11, v2 dst_sel:DWORD dst_unused:UNUSED_PAD src0_sel:DWORD src1_sel:WORD_1
	v_fma_f16 v35, v12, v2, v11
	v_mul_f16_sdwa v11, v13, v3 dst_sel:DWORD dst_unused:UNUSED_PAD src0_sel:DWORD src1_sel:WORD_1
	v_fma_f16 v36, v29, v3, -v11
	v_mul_f16_sdwa v11, v29, v3 dst_sel:DWORD dst_unused:UNUSED_PAD src0_sel:DWORD src1_sel:WORD_1
	v_fma_f16 v29, v13, v3, v11
	v_mul_u32_u24_sdwa v11, v112, s12 dst_sel:DWORD dst_unused:UNUSED_PAD src0_sel:WORD_0 src1_sel:DWORD
	v_lshrrev_b32_e32 v57, 17, v11
	v_mul_lo_u16_e32 v11, 3, v57
	v_sub_u16_e32 v58, v112, v11
	v_lshlrev_b16_e32 v11, 1, v58
	v_lshlrev_b32_e32 v26, 2, v11
	v_mul_u32_u24_sdwa v11, v114, s12 dst_sel:DWORD dst_unused:UNUSED_PAD src0_sel:WORD_0 src1_sel:DWORD
	v_lshrrev_b32_e32 v59, 17, v11
	v_mul_lo_u16_e32 v11, 3, v59
	v_sub_u16_e32 v60, v114, v11
	v_lshlrev_b16_e32 v11, 1, v60
	v_lshlrev_b32_e32 v37, 2, v11
	;; [unrolled: 6-line block ×4, first 2 shown]
	global_load_dwordx2 v[12:13], v26, s[2:3]
	global_load_dwordx2 v[14:15], v37, s[2:3]
	;; [unrolled: 1-line block ×4, first 2 shown]
	v_add_f16_e32 v37, v33, v35
	v_mul_u32_u24_sdwa v26, v234, s12 dst_sel:DWORD dst_unused:UNUSED_PAD src0_sel:WORD_0 src1_sel:DWORD
	v_sub_f16_e32 v61, v35, v29
	v_add_f16_e32 v37, v37, v29
	v_add_f16_e32 v29, v35, v29
	v_lshrrev_b32_e32 v26, 17, v26
	v_fma_f16 v29, v29, -0.5, v33
	v_add_f16_e32 v33, v34, v36
	v_add_f16_e32 v35, v27, v34
	v_sub_f16_e32 v62, v34, v36
	v_mul_lo_u16_e32 v34, 3, v26
	v_fma_f16 v27, v33, -0.5, v27
	v_sub_u16_e32 v63, v234, v34
	v_fma_f16 v20, v61, s0, v27
	v_fma_f16 v21, v62, s1, v29
	v_pack_b32_f16 v65, v20, v21
	v_lshlrev_b16_e32 v20, 1, v63
	v_lshlrev_b32_e32 v20, 2, v20
	global_load_dwordx2 v[20:21], v20, s[2:3]
	v_add_f16_e32 v35, v35, v36
	v_pack_b32_f16 v64, v35, v37
	ds_read2_b32 v[33:34], v163 offset0:6 offset1:249
	ds_read2_b32 v[35:36], v164 offset0:12 offset1:255
	;; [unrolled: 1-line block ×8, first 2 shown]
	ds_read2_b32 v[49:50], v136 offset1:243
	s_waitcnt vmcnt(0) lgkmcnt(0)
	s_barrier
	ds_write2_b32 v175, v64, v65 offset1:3
	v_lshrrev_b32_e32 v64, 16, v30
	v_mul_f16_sdwa v65, v64, v5 dst_sel:DWORD dst_unused:UNUSED_PAD src0_sel:DWORD src1_sel:WORD_1
	v_fma_f16 v65, v30, v5, -v65
	v_mul_f16_sdwa v30, v30, v5 dst_sel:DWORD dst_unused:UNUSED_PAD src0_sel:DWORD src1_sel:WORD_1
	v_fma_f16 v27, v61, s1, v27
	v_fma_f16 v29, v62, s0, v29
	v_lshrrev_b32_e32 v61, 16, v31
	v_mul_f16_sdwa v62, v31, v4 dst_sel:DWORD dst_unused:UNUSED_PAD src0_sel:DWORD src1_sel:WORD_1
	v_fma_f16 v30, v64, v5, v30
	v_fma_f16 v62, v61, v4, v62
	v_mul_f16_sdwa v61, v61, v4 dst_sel:DWORD dst_unused:UNUSED_PAD src0_sel:DWORD src1_sel:WORD_1
	v_lshrrev_b32_e32 v64, 16, v28
	v_fma_f16 v31, v31, v4, -v61
	v_add_f16_e32 v68, v64, v62
	v_add_f16_e32 v61, v31, v65
	;; [unrolled: 1-line block ×3, first 2 shown]
	v_sub_f16_e32 v69, v62, v30
	v_add_f16_e32 v30, v62, v30
	v_fma_f16 v61, v61, -0.5, v28
	v_add_f16_e32 v28, v28, v31
	v_fma_f16 v30, v30, -0.5, v64
	v_sub_f16_e32 v31, v31, v65
	v_pack_b32_f16 v27, v27, v29
	v_add_f16_e32 v28, v28, v65
	ds_write_b32 v175, v27 offset:24
	v_mad_legacy_u16 v27, v51, 9, v52
	v_fma_f16 v29, v69, s0, v61
	v_fma_f16 v51, v31, s1, v30
	v_pack_b32_f16 v28, v28, v68
	v_pack_b32_f16 v29, v29, v51
	v_lshlrev_b32_e32 v176, 2, v27
	v_lshrrev_b32_e32 v27, 16, v32
	ds_write2_b32 v176, v28, v29 offset1:3
	v_mul_f16_sdwa v28, v27, v6 dst_sel:DWORD dst_unused:UNUSED_PAD src0_sel:DWORD src1_sel:WORD_1
	v_fma_f16 v28, v32, v6, -v28
	v_mul_f16_sdwa v29, v32, v6 dst_sel:DWORD dst_unused:UNUSED_PAD src0_sel:DWORD src1_sel:WORD_1
	v_fma_f16 v30, v31, s0, v30
	v_lshrrev_b32_e32 v31, 16, v35
	v_mul_f16_sdwa v32, v35, v7 dst_sel:DWORD dst_unused:UNUSED_PAD src0_sel:DWORD src1_sel:WORD_1
	v_fma_f16 v27, v27, v6, v29
	v_fma_f16 v32, v31, v7, v32
	v_lshrrev_b32_e32 v51, 16, v33
	v_mul_f16_sdwa v31, v31, v7 dst_sel:DWORD dst_unused:UNUSED_PAD src0_sel:DWORD src1_sel:WORD_1
	v_add_f16_e32 v52, v51, v27
	v_fma_f16 v31, v35, v7, -v31
	v_fma_f16 v29, v69, s1, v61
	v_add_f16_e32 v52, v52, v32
	v_sub_f16_e32 v61, v27, v32
	v_add_f16_e32 v27, v27, v32
	v_add_f16_e32 v32, v33, v28
	v_add_f16_e32 v35, v28, v31
	v_fma_f16 v27, v27, -0.5, v51
	v_add_f16_e32 v32, v32, v31
	v_sub_f16_e32 v28, v28, v31
	v_pack_b32_f16 v29, v29, v30
	v_fma_f16 v31, v35, -0.5, v33
	ds_write_b32 v176, v29 offset:24
	v_mad_legacy_u16 v29, v53, 9, v54
	v_pack_b32_f16 v30, v32, v52
	v_fma_f16 v32, v61, s0, v31
	v_fma_f16 v33, v28, s1, v27
	v_pack_b32_f16 v32, v32, v33
	v_lshlrev_b32_e32 v178, 2, v29
	ds_write2_b32 v178, v30, v32 offset1:3
	v_lshrrev_b32_e32 v29, 16, v36
	v_mul_f16_sdwa v32, v36, v9 dst_sel:DWORD dst_unused:UNUSED_PAD src0_sel:DWORD src1_sel:WORD_1
	v_mul_f16_sdwa v30, v29, v9 dst_sel:DWORD dst_unused:UNUSED_PAD src0_sel:DWORD src1_sel:WORD_1
	v_fma_f16 v29, v29, v9, v32
	v_fma_f16 v27, v28, s0, v27
	v_lshrrev_b32_e32 v28, 16, v37
	v_mul_f16_sdwa v32, v37, v8 dst_sel:DWORD dst_unused:UNUSED_PAD src0_sel:DWORD src1_sel:WORD_1
	v_fma_f16 v32, v28, v8, v32
	v_mul_f16_sdwa v28, v28, v8 dst_sel:DWORD dst_unused:UNUSED_PAD src0_sel:DWORD src1_sel:WORD_1
	v_fma_f16 v30, v36, v9, -v30
	v_fma_f16 v28, v37, v8, -v28
	v_lshrrev_b32_e32 v35, 16, v34
	v_add_f16_e32 v33, v28, v30
	v_add_f16_e32 v36, v35, v32
	v_fma_f16 v31, v61, s1, v31
	v_fma_f16 v33, v33, -0.5, v34
	v_add_f16_e32 v34, v34, v28
	v_add_f16_e32 v36, v36, v29
	v_sub_f16_e32 v37, v32, v29
	v_add_f16_e32 v29, v32, v29
	v_fma_f16 v29, v29, -0.5, v35
	v_add_f16_e32 v32, v34, v30
	v_sub_f16_e32 v28, v28, v30
	v_pack_b32_f16 v27, v31, v27
	ds_write_b32 v178, v27 offset:24
	v_mad_legacy_u16 v27, v55, 9, v56
	v_pack_b32_f16 v30, v32, v36
	v_fma_f16 v31, v37, s0, v33
	v_fma_f16 v32, v28, s1, v29
	v_pack_b32_f16 v31, v31, v32
	v_lshlrev_b32_e32 v179, 2, v27
	ds_write2_b32 v179, v30, v31 offset1:3
	v_lshrrev_b32_e32 v27, 16, v38
	v_mul_f16_sdwa v31, v38, v12 dst_sel:DWORD dst_unused:UNUSED_PAD src0_sel:DWORD src1_sel:WORD_1
	v_fma_f16 v28, v28, s0, v29
	v_lshrrev_b32_e32 v29, 16, v41
	v_mul_f16_sdwa v32, v41, v13 dst_sel:DWORD dst_unused:UNUSED_PAD src0_sel:DWORD src1_sel:WORD_1
	v_mul_f16_sdwa v30, v27, v12 dst_sel:DWORD dst_unused:UNUSED_PAD src0_sel:DWORD src1_sel:WORD_1
	v_fma_f16 v27, v27, v12, v31
	v_fma_f16 v31, v37, s1, v33
	;; [unrolled: 1-line block ×3, first 2 shown]
	v_lshrrev_b32_e32 v33, 16, v39
	v_mul_f16_sdwa v29, v29, v13 dst_sel:DWORD dst_unused:UNUSED_PAD src0_sel:DWORD src1_sel:WORD_1
	v_fma_f16 v30, v38, v12, -v30
	v_add_f16_e32 v34, v33, v27
	v_sub_f16_e32 v35, v27, v32
	v_add_f16_e32 v27, v27, v32
	v_fma_f16 v29, v41, v13, -v29
	v_add_f16_e32 v34, v34, v32
	v_fma_f16 v27, v27, -0.5, v33
	v_add_f16_e32 v32, v39, v30
	v_add_f16_e32 v33, v30, v29
	;; [unrolled: 1-line block ×3, first 2 shown]
	v_sub_f16_e32 v29, v30, v29
	v_pack_b32_f16 v28, v31, v28
	v_fma_f16 v31, v33, -0.5, v39
	ds_write_b32 v179, v28 offset:24
	v_mad_legacy_u16 v28, v57, 9, v58
	v_pack_b32_f16 v30, v32, v34
	v_fma_f16 v32, v35, s0, v31
	v_fma_f16 v33, v29, s1, v27
	v_pack_b32_f16 v32, v32, v33
	v_lshlrev_b32_e32 v183, 2, v28
	ds_write2_b32 v183, v30, v32 offset1:3
	v_lshrrev_b32_e32 v28, 16, v42
	v_mul_f16_sdwa v32, v42, v15 dst_sel:DWORD dst_unused:UNUSED_PAD src0_sel:DWORD src1_sel:WORD_1
	v_mul_f16_sdwa v30, v28, v15 dst_sel:DWORD dst_unused:UNUSED_PAD src0_sel:DWORD src1_sel:WORD_1
	v_fma_f16 v28, v28, v15, v32
	v_lshrrev_b32_e32 v32, 16, v43
	v_mul_f16_sdwa v33, v43, v14 dst_sel:DWORD dst_unused:UNUSED_PAD src0_sel:DWORD src1_sel:WORD_1
	v_fma_f16 v33, v32, v14, v33
	v_mul_f16_sdwa v32, v32, v14 dst_sel:DWORD dst_unused:UNUSED_PAD src0_sel:DWORD src1_sel:WORD_1
	v_fma_f16 v31, v35, s1, v31
	v_lshrrev_b32_e32 v35, 16, v40
	v_fma_f16 v30, v42, v15, -v30
	v_fma_f16 v32, v43, v14, -v32
	v_lshrrev_b32_e32 v34, 16, v44
	v_mul_f16_sdwa v37, v44, v16 dst_sel:DWORD dst_unused:UNUSED_PAD src0_sel:DWORD src1_sel:WORD_1
	v_add_f16_e32 v38, v35, v33
	v_mul_f16_sdwa v36, v34, v16 dst_sel:DWORD dst_unused:UNUSED_PAD src0_sel:DWORD src1_sel:WORD_1
	v_fma_f16 v34, v34, v16, v37
	v_fma_f16 v27, v29, s0, v27
	v_add_f16_e32 v29, v32, v30
	v_add_f16_e32 v37, v40, v32
	;; [unrolled: 1-line block ×3, first 2 shown]
	v_sub_f16_e32 v39, v33, v28
	v_add_f16_e32 v28, v33, v28
	v_fma_f16 v29, v29, -0.5, v40
	v_fma_f16 v28, v28, -0.5, v35
	v_add_f16_e32 v33, v37, v30
	v_sub_f16_e32 v30, v32, v30
	v_pack_b32_f16 v27, v31, v27
	ds_write_b32 v183, v27 offset:24
	v_lshrrev_b32_e32 v27, 16, v47
	v_mad_legacy_u16 v31, v59, 9, v60
	v_fma_f16 v32, v39, s0, v29
	v_fma_f16 v35, v30, s1, v28
	v_pack_b32_f16 v33, v33, v38
	v_pack_b32_f16 v32, v32, v35
	v_lshlrev_b32_e32 v190, 2, v31
	v_mul_f16_sdwa v31, v27, v17 dst_sel:DWORD dst_unused:UNUSED_PAD src0_sel:DWORD src1_sel:WORD_1
	v_lshrrev_b32_e32 v38, 16, v50
	v_mul_f16_sdwa v41, v50, v20 dst_sel:DWORD dst_unused:UNUSED_PAD src0_sel:DWORD src1_sel:WORD_1
	v_fma_f16 v36, v44, v16, -v36
	ds_write2_b32 v190, v33, v32 offset1:3
	v_fma_f16 v31, v47, v17, -v31
	v_mul_f16_sdwa v32, v47, v17 dst_sel:DWORD dst_unused:UNUSED_PAD src0_sel:DWORD src1_sel:WORD_1
	v_mul_f16_sdwa v40, v38, v20 dst_sel:DWORD dst_unused:UNUSED_PAD src0_sel:DWORD src1_sel:WORD_1
	v_fma_f16 v38, v38, v20, v41
	v_lshrrev_b32_e32 v41, 16, v22
	v_fma_f16 v27, v27, v17, v32
	v_mul_f16_sdwa v42, v41, v21 dst_sel:DWORD dst_unused:UNUSED_PAD src0_sel:DWORD src1_sel:WORD_1
	v_fma_f16 v28, v30, s0, v28
	v_add_f16_e32 v30, v36, v31
	v_fma_f16 v42, v22, v21, -v42
	v_mul_f16_sdwa v22, v22, v21 dst_sel:DWORD dst_unused:UNUSED_PAD src0_sel:DWORD src1_sel:WORD_1
	v_fma_f16 v29, v39, s1, v29
	v_fma_f16 v30, v30, -0.5, v45
	v_sub_f16_e32 v39, v34, v27
	v_lshrrev_b32_e32 v35, 16, v48
	v_mul_f16_sdwa v33, v48, v19 dst_sel:DWORD dst_unused:UNUSED_PAD src0_sel:DWORD src1_sel:WORD_1
	v_fma_f16 v22, v41, v21, v22
	v_fma_f16 v41, v39, s0, v30
	v_fma_f16 v30, v39, s1, v30
	v_lshrrev_b32_e32 v39, 16, v45
	v_mul_f16_sdwa v32, v35, v19 dst_sel:DWORD dst_unused:UNUSED_PAD src0_sel:DWORD src1_sel:WORD_1
	v_lshrrev_b32_e32 v37, 16, v49
	v_fma_f16 v33, v35, v19, v33
	v_mul_f16_sdwa v35, v49, v18 dst_sel:DWORD dst_unused:UNUSED_PAD src0_sel:DWORD src1_sel:WORD_1
	v_add_f16_e32 v43, v39, v34
	v_fma_f16 v35, v37, v18, v35
	v_mul_f16_sdwa v37, v37, v18 dst_sel:DWORD dst_unused:UNUSED_PAD src0_sel:DWORD src1_sel:WORD_1
	v_add_f16_e32 v43, v43, v27
	v_add_f16_e32 v27, v34, v27
	;; [unrolled: 1-line block ×3, first 2 shown]
	v_fma_f16 v32, v48, v19, -v32
	v_fma_f16 v37, v49, v18, -v37
	v_fma_f16 v27, v27, -0.5, v39
	v_add_f16_e32 v34, v34, v31
	v_sub_f16_e32 v31, v36, v31
	v_fma_f16 v36, v31, s1, v27
	v_fma_f16 v27, v31, s0, v27
	v_add_f16_e32 v31, v37, v32
	v_fma_f16 v31, v31, -0.5, v46
	v_lshrrev_b32_e32 v39, 16, v46
	v_sub_f16_e32 v45, v35, v33
	v_add_f16_e32 v44, v46, v37
	v_fma_f16 v46, v45, s0, v31
	v_fma_f16 v31, v45, s1, v31
	v_add_f16_e32 v45, v39, v35
	v_add_f16_e32 v45, v45, v33
	v_add_f16_e32 v33, v35, v33
	v_fma_f16 v40, v50, v20, -v40
	v_fma_f16 v33, v33, -0.5, v39
	v_add_f16_e32 v35, v44, v32
	v_sub_f16_e32 v32, v37, v32
	v_mad_legacy_u16 v11, v11, 9, v23
	v_fma_f16 v37, v32, s1, v33
	v_fma_f16 v32, v32, s0, v33
	v_add_f16_e32 v33, v40, v42
	v_pack_b32_f16 v28, v29, v28
	v_lshlrev_b32_e32 v193, 2, v11
	v_pack_b32_f16 v11, v34, v43
	v_pack_b32_f16 v23, v41, v36
	v_fma_f16 v33, v33, -0.5, v10
	v_lshrrev_b32_e32 v39, 16, v10
	v_sub_f16_e32 v44, v38, v22
	ds_write_b32 v190, v28 offset:24
	ds_write2_b32 v193, v11, v23 offset1:3
	v_pack_b32_f16 v11, v30, v27
	v_fma_f16 v47, v44, s0, v33
	v_fma_f16 v33, v44, s1, v33
	v_add_f16_e32 v44, v39, v38
	ds_write_b32 v193, v11 offset:24
	v_mad_legacy_u16 v11, v24, 9, v25
	v_add_f16_e32 v44, v44, v22
	v_add_f16_e32 v22, v38, v22
	v_lshlrev_b32_e32 v192, 2, v11
	v_pack_b32_f16 v11, v35, v45
	v_pack_b32_f16 v23, v46, v37
	v_add_f16_e32 v10, v10, v40
	v_fma_f16 v22, v22, -0.5, v39
	v_sub_f16_e32 v38, v40, v42
	ds_write2_b32 v192, v11, v23 offset1:3
	v_pack_b32_f16 v11, v31, v32
	v_add_f16_e32 v10, v10, v42
	v_fma_f16 v39, v38, s1, v22
	ds_write_b32 v192, v11 offset:24
	v_mad_legacy_u16 v11, v26, 9, v63
	v_fma_f16 v22, v38, s0, v22
	v_lshlrev_b32_e32 v191, 2, v11
	v_pack_b32_f16 v10, v10, v44
	v_pack_b32_f16 v11, v47, v39
	ds_write2_b32 v191, v10, v11 offset1:3
	v_pack_b32_f16 v10, v33, v22
	ds_write_b32 v191, v10 offset:24
	v_mov_b32_e32 v10, 57
	v_mul_lo_u16_sdwa v10, v162, v10 dst_sel:DWORD dst_unused:UNUSED_PAD src0_sel:BYTE_0 src1_sel:DWORD
	v_lshrrev_b16_e32 v26, 9, v10
	v_mul_lo_u16_e32 v10, 9, v26
	v_sub_u16_e32 v10, v162, v10
	v_and_b32_e32 v27, 0xff, v10
	v_lshlrev_b32_e32 v10, 3, v27
	s_waitcnt lgkmcnt(0)
	s_barrier
	global_load_dwordx2 v[10:11], v10, s[2:3] offset:24
	ds_read2_b32 v[31:32], v129 offset1:243
	ds_read2_b32 v[24:25], v170 offset0:8 offset1:251
	ds_read2_b32 v[41:42], v167 offset0:6 offset1:249
	s_mov_b32 s12, 0xe38f
	v_mul_u32_u24_sdwa v22, v78, s12 dst_sel:DWORD dst_unused:UNUSED_PAD src0_sel:WORD_0 src1_sel:DWORD
	v_lshrrev_b32_e32 v63, 19, v22
	s_waitcnt lgkmcnt(1)
	v_lshrrev_b32_e32 v29, 16, v25
	s_waitcnt lgkmcnt(0)
	v_lshrrev_b32_e32 v30, 16, v41
	v_lshrrev_b32_e32 v28, 16, v31
	v_mul_lo_u16_e32 v22, 9, v63
	v_sub_u16_e32 v64, v78, v22
	v_lshlrev_b16_e32 v22, 3, v64
	v_add_co_u32_e32 v22, vcc, s2, v22
	v_mul_u32_u24_e32 v26, 27, v26
	v_addc_co_u32_e32 v23, vcc, 0, v239, vcc
	v_add_lshl_u32 v177, v26, v27, 2
	global_load_dwordx2 v[22:23], v[22:23], off offset:24
	s_waitcnt vmcnt(1)
	v_mul_f16_sdwa v33, v25, v10 dst_sel:DWORD dst_unused:UNUSED_PAD src0_sel:DWORD src1_sel:WORD_1
	v_fma_f16 v33, v29, v10, v33
	v_mul_f16_sdwa v34, v41, v11 dst_sel:DWORD dst_unused:UNUSED_PAD src0_sel:DWORD src1_sel:WORD_1
	v_mul_f16_sdwa v29, v29, v10 dst_sel:DWORD dst_unused:UNUSED_PAD src0_sel:DWORD src1_sel:WORD_1
	v_fma_f16 v34, v30, v11, v34
	v_fma_f16 v25, v25, v10, -v29
	v_mul_f16_sdwa v29, v30, v11 dst_sel:DWORD dst_unused:UNUSED_PAD src0_sel:DWORD src1_sel:WORD_1
	v_add_f16_e32 v35, v28, v33
	v_sub_f16_e32 v65, v33, v34
	v_add_f16_e32 v33, v33, v34
	v_fma_f16 v29, v41, v11, -v29
	v_fma_f16 v68, v33, -0.5, v28
	v_add_f16_e32 v28, v31, v25
	v_add_f16_e32 v30, v25, v29
	;; [unrolled: 1-line block ×3, first 2 shown]
	v_sub_f16_e32 v25, v25, v29
	v_mul_u32_u24_sdwa v29, v94, s12 dst_sel:DWORD dst_unused:UNUSED_PAD src0_sel:WORD_0 src1_sel:DWORD
	v_fma_f16 v70, v30, -0.5, v31
	v_lshrrev_b32_e32 v69, 19, v29
	v_fma_f16 v26, v65, s0, v70
	v_fma_f16 v27, v25, s1, v68
	v_pack_b32_f16 v72, v26, v27
	v_mul_lo_u16_e32 v26, 9, v69
	v_sub_u16_e32 v73, v94, v26
	v_lshlrev_b16_e32 v26, 3, v73
	v_add_co_u32_e32 v30, vcc, s2, v26
	v_mul_u32_u24_sdwa v26, v110, s12 dst_sel:DWORD dst_unused:UNUSED_PAD src0_sel:WORD_0 src1_sel:DWORD
	v_lshrrev_b32_e32 v74, 19, v26
	v_mul_lo_u16_e32 v26, 9, v74
	v_sub_u16_e32 v75, v110, v26
	v_addc_co_u32_e32 v31, vcc, 0, v239, vcc
	v_lshlrev_b16_e32 v26, 3, v75
	v_add_f16_e32 v35, v35, v34
	v_add_co_u32_e32 v33, vcc, s2, v26
	v_pack_b32_f16 v71, v28, v35
	v_addc_co_u32_e32 v34, vcc, 0, v239, vcc
	global_load_dwordx2 v[26:27], v[30:31], off offset:24
	global_load_dwordx2 v[28:29], v[33:34], off offset:24
	v_mul_u32_u24_sdwa v30, v112, s12 dst_sel:DWORD dst_unused:UNUSED_PAD src0_sel:WORD_0 src1_sel:DWORD
	v_lshrrev_b32_e32 v76, 19, v30
	v_mul_lo_u16_e32 v30, 9, v76
	v_mul_u32_u24_sdwa v33, v114, s12 dst_sel:DWORD dst_unused:UNUSED_PAD src0_sel:WORD_0 src1_sel:DWORD
	v_sub_u16_e32 v77, v112, v30
	v_lshrrev_b32_e32 v79, 19, v33
	v_lshlrev_b16_e32 v30, 3, v77
	v_mul_lo_u16_e32 v33, 9, v79
	v_mul_u32_u24_sdwa v35, v235, s12 dst_sel:DWORD dst_unused:UNUSED_PAD src0_sel:WORD_0 src1_sel:DWORD
	v_add_co_u32_e32 v30, vcc, s2, v30
	v_sub_u16_e32 v80, v114, v33
	v_lshrrev_b32_e32 v81, 19, v35
	v_addc_co_u32_e32 v31, vcc, 0, v239, vcc
	v_lshlrev_b16_e32 v33, 3, v80
	v_mul_lo_u16_e32 v35, 9, v81
	v_add_co_u32_e32 v33, vcc, s2, v33
	v_sub_u16_e32 v82, v235, v35
	v_addc_co_u32_e32 v34, vcc, 0, v239, vcc
	v_lshlrev_b16_e32 v35, 3, v82
	v_add_co_u32_e32 v36, vcc, s2, v35
	v_mul_u32_u24_sdwa v35, v119, s12 dst_sel:DWORD dst_unused:UNUSED_PAD src0_sel:WORD_0 src1_sel:DWORD
	v_lshrrev_b32_e32 v83, 19, v35
	v_mul_lo_u16_e32 v35, 9, v83
	v_sub_u16_e32 v84, v119, v35
	v_addc_co_u32_e32 v37, vcc, 0, v239, vcc
	v_lshlrev_b16_e32 v35, 3, v84
	v_add_co_u32_e32 v38, vcc, s2, v35
	v_addc_co_u32_e32 v39, vcc, 0, v239, vcc
	global_load_dwordx2 v[30:31], v[30:31], off offset:24
	s_nop 0
	global_load_dwordx2 v[34:35], v[33:34], off offset:24
	s_nop 0
	;; [unrolled: 2-line block ×3, first 2 shown]
	global_load_dwordx2 v[38:39], v[38:39], off offset:24
	v_mul_u32_u24_sdwa v33, v234, s12 dst_sel:DWORD dst_unused:UNUSED_PAD src0_sel:WORD_0 src1_sel:DWORD
	v_lshrrev_b32_e32 v33, 19, v33
	v_mul_lo_u16_e32 v40, 9, v33
	v_sub_u16_e32 v85, v234, v40
	v_lshlrev_b16_e32 v40, 3, v85
	v_add_co_u32_e32 v40, vcc, s2, v40
	v_addc_co_u32_e32 v41, vcc, 0, v239, vcc
	global_load_dwordx2 v[40:41], v[40:41], off offset:24
	ds_read_b32 v86, v129 offset:25272
	ds_read2_b32 v[43:44], v166 offset0:6 offset1:249
	ds_read2_b32 v[45:46], v163 offset0:6 offset1:249
	ds_read2_b32 v[47:48], v164 offset0:12 offset1:255
	ds_read2_b32 v[49:50], v157 offset0:4 offset1:247
	ds_read2_b32 v[51:52], v154 offset0:12 offset1:255
	ds_read2_b32 v[53:54], v152 offset0:2 offset1:245
	ds_read2_b32 v[55:56], v147 offset0:10 offset1:253
	ds_read2_b32 v[57:58], v142 offset0:2 offset1:245
	ds_read2_b32 v[59:60], v140 offset0:8 offset1:251
	ds_read2_b32 v[61:62], v136 offset1:243
	s_waitcnt vmcnt(0) lgkmcnt(0)
	s_barrier
	ds_write2_b32 v177, v71, v72 offset1:9
	v_lshrrev_b32_e32 v71, 16, v42
	v_mul_f16_sdwa v72, v71, v23 dst_sel:DWORD dst_unused:UNUSED_PAD src0_sel:DWORD src1_sel:WORD_1
	v_fma_f16 v72, v42, v23, -v72
	v_mul_f16_sdwa v42, v42, v23 dst_sel:DWORD dst_unused:UNUSED_PAD src0_sel:DWORD src1_sel:WORD_1
	v_fma_f16 v65, v65, s1, v70
	v_fma_f16 v25, v25, s0, v68
	v_lshrrev_b32_e32 v68, 16, v43
	v_mul_f16_sdwa v70, v43, v22 dst_sel:DWORD dst_unused:UNUSED_PAD src0_sel:DWORD src1_sel:WORD_1
	v_fma_f16 v42, v71, v23, v42
	v_fma_f16 v70, v68, v22, v70
	v_mul_f16_sdwa v68, v68, v22 dst_sel:DWORD dst_unused:UNUSED_PAD src0_sel:DWORD src1_sel:WORD_1
	v_lshrrev_b32_e32 v71, 16, v32
	v_fma_f16 v43, v43, v22, -v68
	v_add_f16_e32 v87, v71, v70
	v_add_f16_e32 v68, v43, v72
	;; [unrolled: 1-line block ×3, first 2 shown]
	v_sub_f16_e32 v88, v70, v42
	v_add_f16_e32 v42, v70, v42
	v_fma_f16 v68, v68, -0.5, v32
	v_add_f16_e32 v32, v32, v43
	v_fma_f16 v42, v42, -0.5, v71
	v_sub_f16_e32 v43, v43, v72
	v_pack_b32_f16 v25, v65, v25
	v_add_f16_e32 v32, v32, v72
	ds_write_b32 v177, v25 offset:72
	v_mad_legacy_u16 v25, v63, 27, v64
	v_fma_f16 v63, v88, s0, v68
	v_fma_f16 v64, v43, s1, v42
	v_pack_b32_f16 v32, v32, v87
	v_pack_b32_f16 v63, v63, v64
	v_lshlrev_b32_e32 v195, 2, v25
	v_lshrrev_b32_e32 v25, 16, v44
	ds_write2_b32 v195, v32, v63 offset1:9
	v_mul_f16_sdwa v32, v25, v26 dst_sel:DWORD dst_unused:UNUSED_PAD src0_sel:DWORD src1_sel:WORD_1
	v_fma_f16 v32, v44, v26, -v32
	v_mul_f16_sdwa v44, v44, v26 dst_sel:DWORD dst_unused:UNUSED_PAD src0_sel:DWORD src1_sel:WORD_1
	v_fma_f16 v42, v43, s0, v42
	v_lshrrev_b32_e32 v43, 16, v47
	v_mul_f16_sdwa v63, v47, v27 dst_sel:DWORD dst_unused:UNUSED_PAD src0_sel:DWORD src1_sel:WORD_1
	v_fma_f16 v25, v25, v26, v44
	v_fma_f16 v63, v43, v27, v63
	v_lshrrev_b32_e32 v64, 16, v45
	v_mul_f16_sdwa v43, v43, v27 dst_sel:DWORD dst_unused:UNUSED_PAD src0_sel:DWORD src1_sel:WORD_1
	v_add_f16_e32 v65, v64, v25
	v_fma_f16 v43, v47, v27, -v43
	v_fma_f16 v44, v88, s1, v68
	v_add_f16_e32 v65, v65, v63
	v_sub_f16_e32 v68, v25, v63
	v_add_f16_e32 v25, v25, v63
	v_add_f16_e32 v47, v45, v32
	;; [unrolled: 1-line block ×3, first 2 shown]
	v_fma_f16 v25, v25, -0.5, v64
	v_add_f16_e32 v47, v47, v43
	v_sub_f16_e32 v32, v32, v43
	v_pack_b32_f16 v42, v44, v42
	v_fma_f16 v44, v63, -0.5, v45
	ds_write_b32 v195, v42 offset:72
	v_mad_legacy_u16 v42, v69, 27, v73
	v_pack_b32_f16 v43, v47, v65
	v_fma_f16 v45, v68, s0, v44
	v_fma_f16 v47, v32, s1, v25
	v_pack_b32_f16 v45, v45, v47
	v_lshlrev_b32_e32 v196, 2, v42
	ds_write2_b32 v196, v43, v45 offset1:9
	v_lshrrev_b32_e32 v42, 16, v48
	v_mul_f16_sdwa v45, v48, v29 dst_sel:DWORD dst_unused:UNUSED_PAD src0_sel:DWORD src1_sel:WORD_1
	v_mul_f16_sdwa v43, v42, v29 dst_sel:DWORD dst_unused:UNUSED_PAD src0_sel:DWORD src1_sel:WORD_1
	v_fma_f16 v42, v42, v29, v45
	v_fma_f16 v25, v32, s0, v25
	v_lshrrev_b32_e32 v32, 16, v49
	v_mul_f16_sdwa v45, v49, v28 dst_sel:DWORD dst_unused:UNUSED_PAD src0_sel:DWORD src1_sel:WORD_1
	v_fma_f16 v45, v32, v28, v45
	v_mul_f16_sdwa v32, v32, v28 dst_sel:DWORD dst_unused:UNUSED_PAD src0_sel:DWORD src1_sel:WORD_1
	v_fma_f16 v43, v48, v29, -v43
	v_fma_f16 v32, v49, v28, -v32
	v_lshrrev_b32_e32 v48, 16, v46
	v_add_f16_e32 v47, v32, v43
	v_add_f16_e32 v49, v48, v45
	v_fma_f16 v44, v68, s1, v44
	v_fma_f16 v47, v47, -0.5, v46
	v_add_f16_e32 v46, v46, v32
	v_add_f16_e32 v49, v49, v42
	v_sub_f16_e32 v63, v45, v42
	v_add_f16_e32 v42, v45, v42
	v_fma_f16 v42, v42, -0.5, v48
	v_add_f16_e32 v45, v46, v43
	v_sub_f16_e32 v32, v32, v43
	v_pack_b32_f16 v25, v44, v25
	ds_write_b32 v196, v25 offset:72
	v_mad_legacy_u16 v25, v74, 27, v75
	v_pack_b32_f16 v43, v45, v49
	v_fma_f16 v44, v63, s0, v47
	v_fma_f16 v45, v32, s1, v42
	v_pack_b32_f16 v44, v44, v45
	v_lshlrev_b32_e32 v197, 2, v25
	ds_write2_b32 v197, v43, v44 offset1:9
	v_lshrrev_b32_e32 v25, 16, v50
	v_mul_f16_sdwa v44, v50, v30 dst_sel:DWORD dst_unused:UNUSED_PAD src0_sel:DWORD src1_sel:WORD_1
	v_fma_f16 v32, v32, s0, v42
	v_lshrrev_b32_e32 v42, 16, v53
	v_mul_f16_sdwa v45, v53, v31 dst_sel:DWORD dst_unused:UNUSED_PAD src0_sel:DWORD src1_sel:WORD_1
	v_mul_f16_sdwa v43, v25, v30 dst_sel:DWORD dst_unused:UNUSED_PAD src0_sel:DWORD src1_sel:WORD_1
	v_fma_f16 v25, v25, v30, v44
	v_fma_f16 v45, v42, v31, v45
	v_lshrrev_b32_e32 v46, 16, v51
	v_mul_f16_sdwa v42, v42, v31 dst_sel:DWORD dst_unused:UNUSED_PAD src0_sel:DWORD src1_sel:WORD_1
	v_fma_f16 v43, v50, v30, -v43
	v_fma_f16 v44, v63, s1, v47
	v_add_f16_e32 v47, v46, v25
	v_sub_f16_e32 v48, v25, v45
	v_add_f16_e32 v25, v25, v45
	v_fma_f16 v42, v53, v31, -v42
	v_add_f16_e32 v47, v47, v45
	v_fma_f16 v25, v25, -0.5, v46
	v_add_f16_e32 v45, v51, v43
	v_add_f16_e32 v46, v43, v42
	;; [unrolled: 1-line block ×3, first 2 shown]
	v_sub_f16_e32 v42, v43, v42
	v_pack_b32_f16 v32, v44, v32
	v_fma_f16 v44, v46, -0.5, v51
	ds_write_b32 v197, v32 offset:72
	v_mad_legacy_u16 v32, v76, 27, v77
	v_pack_b32_f16 v43, v45, v47
	v_fma_f16 v45, v48, s0, v44
	v_fma_f16 v46, v42, s1, v25
	v_pack_b32_f16 v45, v45, v46
	v_lshlrev_b32_e32 v198, 2, v32
	ds_write2_b32 v198, v43, v45 offset1:9
	v_lshrrev_b32_e32 v32, 16, v54
	v_mul_f16_sdwa v45, v54, v35 dst_sel:DWORD dst_unused:UNUSED_PAD src0_sel:DWORD src1_sel:WORD_1
	v_mul_f16_sdwa v43, v32, v35 dst_sel:DWORD dst_unused:UNUSED_PAD src0_sel:DWORD src1_sel:WORD_1
	v_fma_f16 v32, v32, v35, v45
	v_fma_f16 v25, v42, s0, v25
	v_lshrrev_b32_e32 v42, 16, v55
	v_mul_f16_sdwa v45, v55, v34 dst_sel:DWORD dst_unused:UNUSED_PAD src0_sel:DWORD src1_sel:WORD_1
	v_fma_f16 v45, v42, v34, v45
	v_mul_f16_sdwa v42, v42, v34 dst_sel:DWORD dst_unused:UNUSED_PAD src0_sel:DWORD src1_sel:WORD_1
	v_lshrrev_b32_e32 v47, 16, v52
	v_fma_f16 v43, v54, v35, -v43
	v_fma_f16 v42, v55, v34, -v42
	v_add_f16_e32 v49, v47, v45
	v_fma_f16 v44, v48, s1, v44
	v_add_f16_e32 v46, v42, v43
	v_add_f16_e32 v48, v52, v42
	v_add_f16_e32 v49, v49, v32
	v_sub_f16_e32 v50, v45, v32
	v_add_f16_e32 v32, v45, v32
	v_fma_f16 v46, v46, -0.5, v52
	v_fma_f16 v32, v32, -0.5, v47
	v_add_f16_e32 v45, v48, v43
	v_sub_f16_e32 v42, v42, v43
	v_pack_b32_f16 v25, v44, v25
	ds_write_b32 v198, v25 offset:72
	v_mad_legacy_u16 v25, v79, 27, v80
	v_pack_b32_f16 v43, v45, v49
	v_fma_f16 v44, v50, s0, v46
	v_fma_f16 v45, v42, s1, v32
	v_pack_b32_f16 v44, v44, v45
	v_lshlrev_b32_e32 v199, 2, v25
	ds_write2_b32 v199, v43, v44 offset1:9
	v_lshrrev_b32_e32 v25, 16, v56
	v_mul_f16_sdwa v44, v56, v36 dst_sel:DWORD dst_unused:UNUSED_PAD src0_sel:DWORD src1_sel:WORD_1
	v_fma_f16 v32, v42, s0, v32
	v_lshrrev_b32_e32 v42, 16, v59
	v_mul_f16_sdwa v45, v59, v37 dst_sel:DWORD dst_unused:UNUSED_PAD src0_sel:DWORD src1_sel:WORD_1
	v_mul_f16_sdwa v43, v25, v36 dst_sel:DWORD dst_unused:UNUSED_PAD src0_sel:DWORD src1_sel:WORD_1
	v_fma_f16 v25, v25, v36, v44
	v_fma_f16 v44, v50, s1, v46
	;; [unrolled: 1-line block ×3, first 2 shown]
	v_lshrrev_b32_e32 v46, 16, v57
	v_mul_f16_sdwa v42, v42, v37 dst_sel:DWORD dst_unused:UNUSED_PAD src0_sel:DWORD src1_sel:WORD_1
	v_fma_f16 v43, v56, v36, -v43
	v_add_f16_e32 v47, v46, v25
	v_sub_f16_e32 v48, v25, v45
	v_add_f16_e32 v25, v25, v45
	v_fma_f16 v42, v59, v37, -v42
	v_add_f16_e32 v47, v47, v45
	v_fma_f16 v25, v25, -0.5, v46
	v_add_f16_e32 v45, v57, v43
	v_add_f16_e32 v46, v43, v42
	;; [unrolled: 1-line block ×3, first 2 shown]
	v_sub_f16_e32 v42, v43, v42
	v_pack_b32_f16 v32, v44, v32
	v_fma_f16 v44, v46, -0.5, v57
	ds_write_b32 v199, v32 offset:72
	v_mad_legacy_u16 v32, v81, 27, v82
	v_pack_b32_f16 v43, v45, v47
	v_fma_f16 v45, v48, s0, v44
	v_fma_f16 v46, v42, s1, v25
	v_pack_b32_f16 v45, v45, v46
	v_lshlrev_b32_e32 v200, 2, v32
	ds_write2_b32 v200, v43, v45 offset1:9
	v_lshrrev_b32_e32 v32, 16, v60
	v_mul_f16_sdwa v45, v60, v39 dst_sel:DWORD dst_unused:UNUSED_PAD src0_sel:DWORD src1_sel:WORD_1
	v_mul_f16_sdwa v43, v32, v39 dst_sel:DWORD dst_unused:UNUSED_PAD src0_sel:DWORD src1_sel:WORD_1
	v_fma_f16 v32, v32, v39, v45
	v_fma_f16 v25, v42, s0, v25
	v_lshrrev_b32_e32 v42, 16, v61
	v_mul_f16_sdwa v45, v61, v38 dst_sel:DWORD dst_unused:UNUSED_PAD src0_sel:DWORD src1_sel:WORD_1
	v_fma_f16 v45, v42, v38, v45
	v_mul_f16_sdwa v42, v42, v38 dst_sel:DWORD dst_unused:UNUSED_PAD src0_sel:DWORD src1_sel:WORD_1
	v_lshrrev_b32_e32 v47, 16, v58
	v_fma_f16 v43, v60, v39, -v43
	v_fma_f16 v42, v61, v38, -v42
	v_add_f16_e32 v49, v47, v45
	v_fma_f16 v44, v48, s1, v44
	v_add_f16_e32 v46, v42, v43
	v_add_f16_e32 v48, v58, v42
	;; [unrolled: 1-line block ×3, first 2 shown]
	v_sub_f16_e32 v50, v45, v32
	v_add_f16_e32 v32, v45, v32
	v_fma_f16 v46, v46, -0.5, v58
	v_fma_f16 v32, v32, -0.5, v47
	v_add_f16_e32 v45, v48, v43
	v_sub_f16_e32 v42, v42, v43
	v_pack_b32_f16 v25, v44, v25
	ds_write_b32 v200, v25 offset:72
	v_mad_legacy_u16 v25, v83, 27, v84
	v_pack_b32_f16 v43, v45, v49
	v_fma_f16 v44, v50, s0, v46
	v_fma_f16 v45, v42, s1, v32
	v_pack_b32_f16 v44, v44, v45
	v_lshlrev_b32_e32 v202, 2, v25
	ds_write2_b32 v202, v43, v44 offset1:9
	v_lshrrev_b32_e32 v25, 16, v62
	v_mul_f16_sdwa v44, v62, v40 dst_sel:DWORD dst_unused:UNUSED_PAD src0_sel:DWORD src1_sel:WORD_1
	v_mul_f16_sdwa v43, v25, v40 dst_sel:DWORD dst_unused:UNUSED_PAD src0_sel:DWORD src1_sel:WORD_1
	v_fma_f16 v25, v25, v40, v44
	v_lshrrev_b32_e32 v44, 16, v86
	v_mul_f16_sdwa v45, v44, v41 dst_sel:DWORD dst_unused:UNUSED_PAD src0_sel:DWORD src1_sel:WORD_1
	v_mul_f16_sdwa v47, v86, v41 dst_sel:DWORD dst_unused:UNUSED_PAD src0_sel:DWORD src1_sel:WORD_1
	v_fma_f16 v43, v62, v40, -v43
	v_fma_f16 v45, v86, v41, -v45
	v_fma_f16 v44, v44, v41, v47
	v_lshrrev_b32_e32 v47, 16, v24
	v_fma_f16 v46, v50, s1, v46
	v_fma_f16 v32, v42, s0, v32
	v_add_f16_e32 v42, v43, v45
	v_add_f16_e32 v48, v47, v25
	v_sub_f16_e32 v49, v25, v44
	v_add_f16_e32 v25, v25, v44
	v_fma_f16 v42, v42, -0.5, v24
	v_add_f16_e32 v24, v24, v43
	v_fma_f16 v25, v25, -0.5, v47
	v_sub_f16_e32 v43, v43, v45
	v_pack_b32_f16 v32, v46, v32
	v_add_f16_e32 v48, v48, v44
	v_add_f16_e32 v24, v24, v45
	ds_write_b32 v202, v32 offset:72
	v_mad_legacy_u16 v32, v33, 27, v85
	v_fma_f16 v33, v49, s0, v42
	v_fma_f16 v44, v43, s1, v25
	v_pack_b32_f16 v24, v24, v48
	v_pack_b32_f16 v33, v33, v44
	v_lshlrev_b32_e32 v203, 2, v32
	ds_write2_b32 v203, v24, v33 offset1:9
	v_fma_f16 v24, v49, s1, v42
	v_fma_f16 v25, v43, s0, v25
	v_pack_b32_f16 v24, v24, v25
	s_movk_i32 s12, 0x2f69
	ds_write_b32 v203, v24 offset:72
	v_mul_u32_u24_sdwa v24, v78, s12 dst_sel:DWORD dst_unused:UNUSED_PAD src0_sel:WORD_0 src1_sel:DWORD
	v_sub_u16_sdwa v25, v78, v24 dst_sel:DWORD dst_unused:UNUSED_PAD src0_sel:DWORD src1_sel:WORD_1
	v_lshrrev_b16_e32 v25, 1, v25
	v_add_u16_sdwa v42, v25, v24 dst_sel:DWORD dst_unused:UNUSED_PAD src0_sel:DWORD src1_sel:WORD_1
	v_mul_u32_u24_sdwa v24, v94, s12 dst_sel:DWORD dst_unused:UNUSED_PAD src0_sel:WORD_0 src1_sel:DWORD
	v_sub_u16_sdwa v25, v94, v24 dst_sel:DWORD dst_unused:UNUSED_PAD src0_sel:DWORD src1_sel:WORD_1
	v_lshrrev_b16_e32 v25, 1, v25
	v_add_u16_sdwa v45, v25, v24 dst_sel:DWORD dst_unused:UNUSED_PAD src0_sel:DWORD src1_sel:WORD_1
	;; [unrolled: 4-line block ×8, first 2 shown]
	v_mov_b32_e32 v24, 19
	v_mul_lo_u16_sdwa v24, v162, v24 dst_sel:DWORD dst_unused:UNUSED_PAD src0_sel:BYTE_0 src1_sel:DWORD
	v_lshrrev_b16_e32 v43, 9, v24
	v_mul_lo_u16_e32 v24, 27, v43
	v_sub_u16_e32 v24, v162, v24
	v_and_b32_e32 v46, 0xff, v24
	v_lshlrev_b32_e32 v24, 3, v46
	s_waitcnt lgkmcnt(0)
	s_barrier
	global_load_dwordx2 v[24:25], v24, s[2:3] offset:96
	ds_read2_b32 v[32:33], v170 offset0:8 offset1:251
	ds_read2_b32 v[59:60], v129 offset1:243
	v_lshrrev_b16_e32 v90, 4, v42
	v_mul_lo_u16_e32 v42, 27, v90
	v_sub_u16_e32 v91, v78, v42
	s_waitcnt lgkmcnt(1)
	v_lshrrev_b32_e32 v47, 16, v33
	s_waitcnt lgkmcnt(0)
	v_lshrrev_b32_e32 v58, 16, v59
	v_mul_u32_u24_e32 v43, 0x51, v43
	v_lshlrev_b16_e32 v42, 3, v91
	v_add_lshl_u32 v194, v43, v46, 2
	v_add_co_u32_e32 v42, vcc, s2, v42
	v_lshrrev_b16_e32 v92, 4, v45
	v_mul_lo_u16_e32 v45, 27, v92
	v_sub_u16_e32 v93, v94, v45
	v_lshrrev_b16_e32 v95, 4, v44
	v_lshlrev_b16_e32 v45, 3, v93
	v_mul_lo_u16_e32 v44, 27, v95
	v_sub_u16_e32 v96, v110, v44
	v_lshlrev_b16_e32 v44, 3, v96
	v_lshrrev_b16_e32 v97, 4, v51
	v_mul_lo_u16_e32 v51, 27, v97
	v_sub_u16_e32 v98, v112, v51
	v_lshrrev_b16_e32 v99, 4, v50
	v_lshlrev_b16_e32 v51, 3, v98
	v_mul_lo_u16_e32 v50, 27, v99
	v_sub_u16_e32 v100, v114, v50
	v_lshrrev_b16_e32 v101, 4, v49
	v_lshlrev_b16_e32 v50, 3, v100
	;; [unrolled: 4-line block ×3, first 2 shown]
	v_mul_lo_u16_e32 v48, 27, v103
	v_sub_u16_e32 v104, v119, v48
	v_lshlrev_b16_e32 v48, 3, v104
	s_movk_i32 s12, 0x51
	s_waitcnt vmcnt(0)
	v_mul_f16_sdwa v53, v33, v24 dst_sel:DWORD dst_unused:UNUSED_PAD src0_sel:DWORD src1_sel:WORD_1
	v_fma_f16 v55, v47, v24, v53
	ds_read2_b32 v[53:54], v167 offset0:6 offset1:249
	v_mul_f16_sdwa v47, v47, v24 dst_sel:DWORD dst_unused:UNUSED_PAD src0_sel:DWORD src1_sel:WORD_1
	v_fma_f16 v33, v33, v24, -v47
	v_add_f16_e32 v61, v58, v55
	s_waitcnt lgkmcnt(0)
	v_lshrrev_b32_e32 v56, 16, v53
	v_mul_f16_sdwa v57, v53, v25 dst_sel:DWORD dst_unused:UNUSED_PAD src0_sel:DWORD src1_sel:WORD_1
	v_fma_f16 v57, v56, v25, v57
	v_mul_f16_sdwa v47, v56, v25 dst_sel:DWORD dst_unused:UNUSED_PAD src0_sel:DWORD src1_sel:WORD_1
	v_sub_f16_e32 v85, v55, v57
	v_add_f16_e32 v55, v55, v57
	v_fma_f16 v47, v53, v25, -v47
	v_fma_f16 v86, v55, -0.5, v58
	v_add_f16_e32 v55, v33, v47
	v_add_f16_e32 v53, v59, v33
	v_sub_f16_e32 v33, v33, v47
	v_fma_f16 v88, v55, -0.5, v59
	v_fma_f16 v43, v85, s0, v88
	v_fma_f16 v46, v33, s1, v86
	v_pack_b32_f16 v89, v43, v46
	v_addc_co_u32_e32 v43, vcc, 0, v239, vcc
	global_load_dwordx2 v[42:43], v[42:43], off offset:96
	v_add_co_u32_e32 v45, vcc, s2, v45
	v_addc_co_u32_e32 v46, vcc, 0, v239, vcc
	v_add_co_u32_e32 v55, vcc, s2, v44
	v_add_f16_e32 v53, v53, v47
	v_addc_co_u32_e32 v56, vcc, 0, v239, vcc
	global_load_dwordx2 v[44:45], v[45:46], off offset:96
	s_nop 0
	global_load_dwordx2 v[46:47], v[55:56], off offset:96
	v_add_co_u32_e32 v55, vcc, s2, v51
	v_addc_co_u32_e32 v56, vcc, 0, v239, vcc
	v_add_co_u32_e32 v50, vcc, s2, v50
	v_addc_co_u32_e32 v51, vcc, 0, v239, vcc
	v_add_f16_e32 v61, v61, v57
	v_add_co_u32_e32 v57, vcc, s2, v49
	v_addc_co_u32_e32 v58, vcc, 0, v239, vcc
	v_pack_b32_f16 v87, v53, v61
	v_add_co_u32_e32 v61, vcc, s2, v48
	v_addc_co_u32_e32 v62, vcc, 0, v239, vcc
	global_load_dwordx2 v[48:49], v[55:56], off offset:96
	s_nop 0
	global_load_dwordx2 v[50:51], v[50:51], off offset:96
	s_nop 0
	;; [unrolled: 2-line block ×3, first 2 shown]
	global_load_dwordx2 v[58:59], v[61:62], off offset:96
	v_lshrrev_b16_e32 v55, 4, v52
	v_mul_lo_u16_e32 v52, 27, v55
	v_sub_u16_e32 v61, v234, v52
	v_lshlrev_b16_e32 v52, 3, v61
	v_add_co_u32_e32 v52, vcc, s2, v52
	v_addc_co_u32_e32 v53, vcc, 0, v239, vcc
	global_load_dwordx2 v[62:63], v[52:53], off offset:96
	ds_read_b32 v105, v129 offset:25272
	ds_read2_b32 v[52:53], v166 offset0:6 offset1:249
	ds_read2_b32 v[64:65], v163 offset0:6 offset1:249
	;; [unrolled: 1-line block ×9, first 2 shown]
	ds_read2_b32 v[83:84], v136 offset1:243
	s_waitcnt vmcnt(0) lgkmcnt(0)
	s_barrier
	ds_write2_b32 v194, v87, v89 offset1:27
	v_lshrrev_b32_e32 v87, 16, v54
	v_fma_f16 v33, v33, s0, v86
	v_lshrrev_b32_e32 v86, 16, v52
	v_fma_f16 v85, v85, s1, v88
	v_lshrrev_b32_e32 v88, 16, v60
	v_pack_b32_f16 v33, v85, v33
	ds_write_b32 v194, v33 offset:216
	v_mad_legacy_u16 v33, v90, s12, v91
	v_lshlrev_b32_e32 v204, 2, v33
	v_lshrrev_b32_e32 v33, 16, v53
	v_mul_f16_sdwa v89, v87, v43 dst_sel:DWORD dst_unused:UNUSED_PAD src0_sel:DWORD src1_sel:WORD_1
	v_fma_f16 v89, v54, v43, -v89
	v_mul_f16_sdwa v54, v54, v43 dst_sel:DWORD dst_unused:UNUSED_PAD src0_sel:DWORD src1_sel:WORD_1
	v_fma_f16 v54, v87, v43, v54
	v_mul_f16_sdwa v87, v52, v42 dst_sel:DWORD dst_unused:UNUSED_PAD src0_sel:DWORD src1_sel:WORD_1
	v_fma_f16 v87, v86, v42, v87
	v_mul_f16_sdwa v86, v86, v42 dst_sel:DWORD dst_unused:UNUSED_PAD src0_sel:DWORD src1_sel:WORD_1
	v_fma_f16 v52, v52, v42, -v86
	v_add_f16_e32 v106, v88, v87
	v_add_f16_e32 v86, v52, v89
	;; [unrolled: 1-line block ×3, first 2 shown]
	v_sub_f16_e32 v107, v87, v54
	v_add_f16_e32 v54, v87, v54
	v_fma_f16 v86, v86, -0.5, v60
	v_add_f16_e32 v60, v60, v52
	v_fma_f16 v54, v54, -0.5, v88
	v_sub_f16_e32 v52, v52, v89
	v_add_f16_e32 v60, v60, v89
	v_fma_f16 v85, v107, s0, v86
	v_fma_f16 v87, v52, s1, v54
	v_pack_b32_f16 v60, v60, v106
	v_pack_b32_f16 v85, v85, v87
	ds_write2_b32 v204, v60, v85 offset1:27
	v_mul_f16_sdwa v60, v33, v44 dst_sel:DWORD dst_unused:UNUSED_PAD src0_sel:DWORD src1_sel:WORD_1
	v_fma_f16 v60, v53, v44, -v60
	v_mul_f16_sdwa v53, v53, v44 dst_sel:DWORD dst_unused:UNUSED_PAD src0_sel:DWORD src1_sel:WORD_1
	v_fma_f16 v52, v52, s0, v54
	v_lshrrev_b32_e32 v54, 16, v68
	v_mul_f16_sdwa v85, v68, v45 dst_sel:DWORD dst_unused:UNUSED_PAD src0_sel:DWORD src1_sel:WORD_1
	v_fma_f16 v33, v33, v44, v53
	v_fma_f16 v53, v107, s1, v86
	;; [unrolled: 1-line block ×3, first 2 shown]
	v_lshrrev_b32_e32 v86, 16, v64
	v_mul_f16_sdwa v54, v54, v45 dst_sel:DWORD dst_unused:UNUSED_PAD src0_sel:DWORD src1_sel:WORD_1
	v_add_f16_e32 v87, v86, v33
	v_fma_f16 v54, v68, v45, -v54
	v_add_f16_e32 v87, v87, v85
	v_sub_f16_e32 v88, v33, v85
	v_add_f16_e32 v33, v33, v85
	v_add_f16_e32 v68, v64, v60
	;; [unrolled: 1-line block ×3, first 2 shown]
	v_fma_f16 v33, v33, -0.5, v86
	v_add_f16_e32 v68, v68, v54
	v_sub_f16_e32 v54, v60, v54
	v_pack_b32_f16 v52, v53, v52
	v_fma_f16 v60, v85, -0.5, v64
	ds_write_b32 v204, v52 offset:216
	v_mad_legacy_u16 v52, v92, s12, v93
	v_pack_b32_f16 v53, v68, v87
	v_fma_f16 v64, v88, s0, v60
	v_fma_f16 v68, v54, s1, v33
	v_pack_b32_f16 v64, v64, v68
	v_lshlrev_b32_e32 v205, 2, v52
	ds_write2_b32 v205, v53, v64 offset1:27
	v_lshrrev_b32_e32 v52, 16, v69
	v_mul_f16_sdwa v64, v69, v47 dst_sel:DWORD dst_unused:UNUSED_PAD src0_sel:DWORD src1_sel:WORD_1
	v_mul_f16_sdwa v53, v52, v47 dst_sel:DWORD dst_unused:UNUSED_PAD src0_sel:DWORD src1_sel:WORD_1
	v_fma_f16 v52, v52, v47, v64
	v_fma_f16 v33, v54, s0, v33
	v_lshrrev_b32_e32 v54, 16, v70
	v_mul_f16_sdwa v64, v70, v46 dst_sel:DWORD dst_unused:UNUSED_PAD src0_sel:DWORD src1_sel:WORD_1
	v_fma_f16 v64, v54, v46, v64
	v_mul_f16_sdwa v54, v54, v46 dst_sel:DWORD dst_unused:UNUSED_PAD src0_sel:DWORD src1_sel:WORD_1
	v_fma_f16 v53, v69, v47, -v53
	v_fma_f16 v54, v70, v46, -v54
	v_lshrrev_b32_e32 v69, 16, v65
	v_add_f16_e32 v68, v54, v53
	v_add_f16_e32 v70, v69, v64
	v_fma_f16 v60, v88, s1, v60
	v_fma_f16 v68, v68, -0.5, v65
	v_add_f16_e32 v65, v65, v54
	v_add_f16_e32 v70, v70, v52
	v_sub_f16_e32 v85, v64, v52
	v_add_f16_e32 v52, v64, v52
	v_fma_f16 v52, v52, -0.5, v69
	v_add_f16_e32 v64, v65, v53
	v_sub_f16_e32 v53, v54, v53
	v_pack_b32_f16 v33, v60, v33
	ds_write_b32 v205, v33 offset:216
	v_mad_legacy_u16 v33, v95, s12, v96
	v_pack_b32_f16 v54, v64, v70
	v_fma_f16 v60, v85, s0, v68
	v_fma_f16 v64, v53, s1, v52
	v_pack_b32_f16 v60, v60, v64
	v_lshlrev_b32_e32 v206, 2, v33
	ds_write2_b32 v206, v54, v60 offset1:27
	v_lshrrev_b32_e32 v33, 16, v71
	v_mul_f16_sdwa v60, v71, v48 dst_sel:DWORD dst_unused:UNUSED_PAD src0_sel:DWORD src1_sel:WORD_1
	v_fma_f16 v52, v53, s0, v52
	v_lshrrev_b32_e32 v53, 16, v74
	v_mul_f16_sdwa v64, v74, v49 dst_sel:DWORD dst_unused:UNUSED_PAD src0_sel:DWORD src1_sel:WORD_1
	v_mul_f16_sdwa v54, v33, v48 dst_sel:DWORD dst_unused:UNUSED_PAD src0_sel:DWORD src1_sel:WORD_1
	v_fma_f16 v33, v33, v48, v60
	v_fma_f16 v64, v53, v49, v64
	v_lshrrev_b32_e32 v65, 16, v72
	v_mul_f16_sdwa v53, v53, v49 dst_sel:DWORD dst_unused:UNUSED_PAD src0_sel:DWORD src1_sel:WORD_1
	v_fma_f16 v54, v71, v48, -v54
	v_fma_f16 v60, v85, s1, v68
	v_add_f16_e32 v68, v65, v33
	v_sub_f16_e32 v69, v33, v64
	v_add_f16_e32 v33, v33, v64
	v_fma_f16 v53, v74, v49, -v53
	v_add_f16_e32 v68, v68, v64
	v_fma_f16 v33, v33, -0.5, v65
	v_add_f16_e32 v64, v72, v54
	v_add_f16_e32 v65, v54, v53
	;; [unrolled: 1-line block ×3, first 2 shown]
	v_sub_f16_e32 v53, v54, v53
	v_pack_b32_f16 v52, v60, v52
	v_fma_f16 v60, v65, -0.5, v72
	ds_write_b32 v206, v52 offset:216
	v_mad_legacy_u16 v52, v97, s12, v98
	v_pack_b32_f16 v54, v64, v68
	v_fma_f16 v64, v69, s0, v60
	v_fma_f16 v65, v53, s1, v33
	v_pack_b32_f16 v64, v64, v65
	v_lshlrev_b32_e32 v207, 2, v52
	ds_write2_b32 v207, v54, v64 offset1:27
	v_lshrrev_b32_e32 v52, 16, v75
	v_mul_f16_sdwa v64, v75, v51 dst_sel:DWORD dst_unused:UNUSED_PAD src0_sel:DWORD src1_sel:WORD_1
	v_mul_f16_sdwa v54, v52, v51 dst_sel:DWORD dst_unused:UNUSED_PAD src0_sel:DWORD src1_sel:WORD_1
	v_fma_f16 v52, v52, v51, v64
	v_fma_f16 v33, v53, s0, v33
	v_lshrrev_b32_e32 v53, 16, v76
	v_mul_f16_sdwa v64, v76, v50 dst_sel:DWORD dst_unused:UNUSED_PAD src0_sel:DWORD src1_sel:WORD_1
	v_fma_f16 v64, v53, v50, v64
	v_mul_f16_sdwa v53, v53, v50 dst_sel:DWORD dst_unused:UNUSED_PAD src0_sel:DWORD src1_sel:WORD_1
	v_lshrrev_b32_e32 v68, 16, v73
	v_fma_f16 v54, v75, v51, -v54
	v_fma_f16 v53, v76, v50, -v53
	v_add_f16_e32 v70, v68, v64
	v_fma_f16 v60, v69, s1, v60
	v_add_f16_e32 v65, v53, v54
	v_add_f16_e32 v69, v73, v53
	;; [unrolled: 1-line block ×3, first 2 shown]
	v_sub_f16_e32 v71, v64, v52
	v_add_f16_e32 v52, v64, v52
	v_fma_f16 v65, v65, -0.5, v73
	v_fma_f16 v52, v52, -0.5, v68
	v_add_f16_e32 v64, v69, v54
	v_sub_f16_e32 v53, v53, v54
	v_pack_b32_f16 v33, v60, v33
	ds_write_b32 v207, v33 offset:216
	v_mad_legacy_u16 v33, v99, s12, v100
	v_pack_b32_f16 v54, v64, v70
	v_fma_f16 v60, v71, s0, v65
	v_fma_f16 v64, v53, s1, v52
	v_pack_b32_f16 v60, v60, v64
	v_lshlrev_b32_e32 v208, 2, v33
	ds_write2_b32 v208, v54, v60 offset1:27
	v_lshrrev_b32_e32 v33, 16, v77
	v_mul_f16_sdwa v60, v77, v56 dst_sel:DWORD dst_unused:UNUSED_PAD src0_sel:DWORD src1_sel:WORD_1
	v_fma_f16 v52, v53, s0, v52
	v_lshrrev_b32_e32 v53, 16, v81
	v_mul_f16_sdwa v64, v81, v57 dst_sel:DWORD dst_unused:UNUSED_PAD src0_sel:DWORD src1_sel:WORD_1
	v_mul_f16_sdwa v54, v33, v56 dst_sel:DWORD dst_unused:UNUSED_PAD src0_sel:DWORD src1_sel:WORD_1
	v_fma_f16 v33, v33, v56, v60
	v_fma_f16 v60, v71, s1, v65
	;; [unrolled: 1-line block ×3, first 2 shown]
	v_lshrrev_b32_e32 v65, 16, v79
	v_mul_f16_sdwa v53, v53, v57 dst_sel:DWORD dst_unused:UNUSED_PAD src0_sel:DWORD src1_sel:WORD_1
	v_fma_f16 v54, v77, v56, -v54
	v_add_f16_e32 v68, v65, v33
	v_sub_f16_e32 v69, v33, v64
	v_add_f16_e32 v33, v33, v64
	v_fma_f16 v53, v81, v57, -v53
	v_add_f16_e32 v68, v68, v64
	v_fma_f16 v33, v33, -0.5, v65
	v_add_f16_e32 v64, v79, v54
	v_add_f16_e32 v65, v54, v53
	;; [unrolled: 1-line block ×3, first 2 shown]
	v_sub_f16_e32 v53, v54, v53
	v_pack_b32_f16 v52, v60, v52
	v_fma_f16 v60, v65, -0.5, v79
	ds_write_b32 v208, v52 offset:216
	v_mad_legacy_u16 v52, v101, s12, v102
	v_pack_b32_f16 v54, v64, v68
	v_fma_f16 v64, v69, s0, v60
	v_fma_f16 v65, v53, s1, v33
	v_pack_b32_f16 v64, v64, v65
	v_lshlrev_b32_e32 v209, 2, v52
	ds_write2_b32 v209, v54, v64 offset1:27
	v_lshrrev_b32_e32 v52, 16, v82
	v_mul_f16_sdwa v64, v82, v59 dst_sel:DWORD dst_unused:UNUSED_PAD src0_sel:DWORD src1_sel:WORD_1
	v_mul_f16_sdwa v54, v52, v59 dst_sel:DWORD dst_unused:UNUSED_PAD src0_sel:DWORD src1_sel:WORD_1
	v_fma_f16 v52, v52, v59, v64
	v_fma_f16 v33, v53, s0, v33
	v_lshrrev_b32_e32 v53, 16, v83
	v_mul_f16_sdwa v64, v83, v58 dst_sel:DWORD dst_unused:UNUSED_PAD src0_sel:DWORD src1_sel:WORD_1
	v_fma_f16 v64, v53, v58, v64
	v_mul_f16_sdwa v53, v53, v58 dst_sel:DWORD dst_unused:UNUSED_PAD src0_sel:DWORD src1_sel:WORD_1
	v_lshrrev_b32_e32 v68, 16, v80
	v_fma_f16 v54, v82, v59, -v54
	v_fma_f16 v53, v83, v58, -v53
	v_add_f16_e32 v70, v68, v64
	v_fma_f16 v60, v69, s1, v60
	v_add_f16_e32 v65, v53, v54
	v_add_f16_e32 v69, v80, v53
	;; [unrolled: 1-line block ×3, first 2 shown]
	v_sub_f16_e32 v71, v64, v52
	v_add_f16_e32 v52, v64, v52
	v_fma_f16 v65, v65, -0.5, v80
	v_fma_f16 v52, v52, -0.5, v68
	v_add_f16_e32 v64, v69, v54
	v_sub_f16_e32 v53, v53, v54
	v_pack_b32_f16 v33, v60, v33
	ds_write_b32 v209, v33 offset:216
	v_mad_legacy_u16 v33, v103, s12, v104
	v_pack_b32_f16 v54, v64, v70
	v_fma_f16 v60, v71, s0, v65
	v_fma_f16 v64, v53, s1, v52
	v_pack_b32_f16 v60, v60, v64
	v_lshlrev_b32_e32 v210, 2, v33
	ds_write2_b32 v210, v54, v60 offset1:27
	v_lshrrev_b32_e32 v33, 16, v84
	v_mul_f16_sdwa v60, v84, v62 dst_sel:DWORD dst_unused:UNUSED_PAD src0_sel:DWORD src1_sel:WORD_1
	v_mul_f16_sdwa v54, v33, v62 dst_sel:DWORD dst_unused:UNUSED_PAD src0_sel:DWORD src1_sel:WORD_1
	v_fma_f16 v33, v33, v62, v60
	v_lshrrev_b32_e32 v60, 16, v105
	v_mul_f16_sdwa v64, v60, v63 dst_sel:DWORD dst_unused:UNUSED_PAD src0_sel:DWORD src1_sel:WORD_1
	v_mul_f16_sdwa v68, v105, v63 dst_sel:DWORD dst_unused:UNUSED_PAD src0_sel:DWORD src1_sel:WORD_1
	v_fma_f16 v54, v84, v62, -v54
	v_fma_f16 v64, v105, v63, -v64
	v_fma_f16 v60, v60, v63, v68
	v_lshrrev_b32_e32 v68, 16, v32
	v_fma_f16 v65, v71, s1, v65
	v_fma_f16 v52, v53, s0, v52
	v_add_f16_e32 v53, v54, v64
	v_add_f16_e32 v69, v68, v33
	v_sub_f16_e32 v70, v33, v60
	v_add_f16_e32 v33, v33, v60
	v_fma_f16 v53, v53, -0.5, v32
	v_add_f16_e32 v32, v32, v54
	v_fma_f16 v33, v33, -0.5, v68
	v_sub_f16_e32 v54, v54, v64
	v_pack_b32_f16 v52, v65, v52
	v_add_f16_e32 v69, v69, v60
	v_add_f16_e32 v32, v32, v64
	ds_write_b32 v210, v52 offset:216
	v_mad_legacy_u16 v52, v55, s12, v61
	v_fma_f16 v55, v70, s0, v53
	v_fma_f16 v60, v54, s1, v33
	v_pack_b32_f16 v32, v32, v69
	v_pack_b32_f16 v55, v55, v60
	v_lshlrev_b32_e32 v211, 2, v52
	ds_write2_b32 v211, v32, v55 offset1:27
	v_fma_f16 v32, v70, s1, v53
	v_fma_f16 v33, v54, s0, v33
	v_pack_b32_f16 v32, v32, v33
	s_movk_i32 s12, 0xcb
	ds_write_b32 v211, v32 offset:216
	v_mul_lo_u16_sdwa v32, v162, s12 dst_sel:DWORD dst_unused:UNUSED_PAD src0_sel:BYTE_0 src1_sel:DWORD
	v_lshrrev_b16_e32 v54, 14, v32
	v_mul_lo_u16_e32 v32, 0x51, v54
	v_sub_u16_e32 v32, v162, v32
	v_and_b32_e32 v55, 0xff, v32
	v_lshlrev_b32_e32 v32, 3, v55
	s_waitcnt lgkmcnt(0)
	s_barrier
	global_load_dwordx2 v[32:33], v32, s[2:3] offset:312
	ds_read2_b32 v[52:53], v170 offset0:8 offset1:251
	ds_read2_b32 v[75:76], v167 offset0:6 offset1:249
	ds_read2_b32 v[81:82], v129 offset1:243
	s_movk_i32 s12, 0x6523
	v_mul_u32_u24_sdwa v70, v114, s12 dst_sel:DWORD dst_unused:UNUSED_PAD src0_sel:WORD_0 src1_sel:DWORD
	s_waitcnt lgkmcnt(2)
	v_lshrrev_b32_e32 v60, 16, v53
	s_waitcnt lgkmcnt(1)
	v_lshrrev_b32_e32 v64, 16, v75
	;; [unrolled: 2-line block ×3, first 2 shown]
	v_lshrrev_b32_e32 v120, 21, v70
	v_mul_lo_u16_e32 v70, 0x51, v120
	v_mul_u32_u24_sdwa v72, v235, s12 dst_sel:DWORD dst_unused:UNUSED_PAD src0_sel:WORD_0 src1_sel:DWORD
	v_sub_u16_e32 v121, v114, v70
	v_lshrrev_b32_e32 v122, 21, v72
	v_lshlrev_b16_e32 v70, 3, v121
	v_mul_lo_u16_e32 v72, 0x51, v122
	v_mul_u32_u24_sdwa v74, v119, s12 dst_sel:DWORD dst_unused:UNUSED_PAD src0_sel:WORD_0 src1_sel:DWORD
	v_sub_u16_e32 v123, v235, v72
	v_lshrrev_b32_e32 v124, 21, v74
	v_lshlrev_b16_e32 v72, 3, v123
	v_mul_lo_u16_e32 v74, 0x51, v124
	v_sub_u16_e32 v125, v119, v74
	v_lshlrev_b16_e32 v74, 3, v125
	v_mul_u32_u24_sdwa v79, v234, s12 dst_sel:DWORD dst_unused:UNUSED_PAD src0_sel:WORD_0 src1_sel:DWORD
	v_lshrrev_b32_e32 v126, 21, v79
	v_mul_lo_u16_e32 v79, 0x51, v126
	v_sub_u16_e32 v127, v234, v79
	v_lshlrev_b16_e32 v79, 3, v127
	s_waitcnt vmcnt(0)
	v_mul_f16_sdwa v61, v53, v32 dst_sel:DWORD dst_unused:UNUSED_PAD src0_sel:DWORD src1_sel:WORD_1
	v_fma_f16 v61, v60, v32, v61
	v_mul_f16_sdwa v60, v60, v32 dst_sel:DWORD dst_unused:UNUSED_PAD src0_sel:DWORD src1_sel:WORD_1
	v_mul_f16_sdwa v65, v75, v33 dst_sel:DWORD dst_unused:UNUSED_PAD src0_sel:DWORD src1_sel:WORD_1
	v_fma_f16 v53, v53, v32, -v60
	v_mul_f16_sdwa v60, v64, v33 dst_sel:DWORD dst_unused:UNUSED_PAD src0_sel:DWORD src1_sel:WORD_1
	v_fma_f16 v65, v64, v33, v65
	v_fma_f16 v60, v75, v33, -v60
	v_add_f16_e32 v69, v68, v61
	v_sub_f16_e32 v77, v61, v65
	v_add_f16_e32 v61, v61, v65
	v_add_f16_e32 v64, v53, v60
	v_fma_f16 v93, v61, -0.5, v68
	v_add_f16_e32 v61, v81, v53
	v_sub_f16_e32 v105, v53, v60
	v_mul_u32_u24_e32 v53, 0xf3, v54
	v_fma_f16 v107, v64, -0.5, v81
	v_add_lshl_u32 v201, v53, v55, 2
	v_fma_f16 v53, v77, s0, v107
	v_fma_f16 v54, v105, s1, v93
	v_pack_b32_f16 v108, v53, v54
	v_mul_u32_u24_sdwa v53, v78, s12 dst_sel:DWORD dst_unused:UNUSED_PAD src0_sel:WORD_0 src1_sel:DWORD
	v_lshrrev_b32_e32 v109, 21, v53
	v_mul_lo_u16_e32 v53, 0x51, v109
	v_sub_u16_e32 v111, v78, v53
	v_lshlrev_b16_e32 v53, 3, v111
	v_mul_u32_u24_sdwa v55, v94, s12 dst_sel:DWORD dst_unused:UNUSED_PAD src0_sel:WORD_0 src1_sel:DWORD
	v_add_co_u32_e32 v53, vcc, s2, v53
	v_lshrrev_b32_e32 v113, 21, v55
	v_addc_co_u32_e32 v54, vcc, 0, v239, vcc
	v_mul_lo_u16_e32 v55, 0x51, v113
	v_sub_u16_e32 v115, v94, v55
	global_load_dwordx2 v[54:55], v[53:54], off offset:312
	v_lshlrev_b16_e32 v53, 3, v115
	v_add_f16_e32 v61, v61, v60
	v_add_co_u32_e32 v60, vcc, s2, v53
	v_mul_u32_u24_sdwa v53, v110, s12 dst_sel:DWORD dst_unused:UNUSED_PAD src0_sel:WORD_0 src1_sel:DWORD
	v_lshrrev_b32_e32 v53, 21, v53
	v_mul_lo_u16_e32 v64, 0x51, v53
	v_add_f16_e32 v69, v69, v65
	v_sub_u16_e32 v116, v110, v64
	v_pack_b32_f16 v106, v61, v69
	v_addc_co_u32_e32 v61, vcc, 0, v239, vcc
	v_lshlrev_b16_e32 v64, 3, v116
	v_add_co_u32_e32 v64, vcc, s2, v64
	v_addc_co_u32_e32 v65, vcc, 0, v239, vcc
	global_load_dwordx2 v[60:61], v[60:61], off offset:312
	s_nop 0
	global_load_dwordx2 v[64:65], v[64:65], off offset:312
	v_mul_u32_u24_sdwa v68, v112, s12 dst_sel:DWORD dst_unused:UNUSED_PAD src0_sel:WORD_0 src1_sel:DWORD
	v_lshrrev_b32_e32 v117, 21, v68
	v_mul_lo_u16_e32 v68, 0x51, v117
	v_sub_u16_e32 v118, v112, v68
	v_lshlrev_b16_e32 v68, 3, v118
	v_add_co_u32_e32 v68, vcc, s2, v68
	v_addc_co_u32_e32 v69, vcc, 0, v239, vcc
	v_add_co_u32_e32 v70, vcc, s2, v70
	v_addc_co_u32_e32 v71, vcc, 0, v239, vcc
	;; [unrolled: 2-line block ×4, first 2 shown]
	global_load_dwordx2 v[68:69], v[68:69], off offset:312
	s_nop 0
	global_load_dwordx2 v[70:71], v[70:71], off offset:312
	s_nop 0
	;; [unrolled: 2-line block ×3, first 2 shown]
	global_load_dwordx2 v[74:75], v[74:75], off offset:312
	v_add_co_u32_e32 v79, vcc, s2, v79
	v_addc_co_u32_e32 v80, vcc, 0, v239, vcc
	global_load_dwordx2 v[80:81], v[79:80], off offset:312
	ds_read_b32 v79, v129 offset:25272
	ds_read2_b32 v[83:84], v166 offset0:6 offset1:249
	ds_read2_b32 v[85:86], v163 offset0:6 offset1:249
	;; [unrolled: 1-line block ×9, first 2 shown]
	ds_read2_b32 v[103:104], v136 offset1:243
	s_waitcnt vmcnt(0) lgkmcnt(0)
	s_barrier
	ds_write2_b32 v201, v106, v108 offset1:81
	v_lshrrev_b32_e32 v106, 16, v76
	v_fma_f16 v93, v105, s0, v93
	v_lshrrev_b32_e32 v105, 16, v83
	v_fma_f16 v77, v77, s1, v107
	v_lshrrev_b32_e32 v107, 16, v82
	v_pack_b32_f16 v77, v77, v93
	ds_write_b32 v201, v77 offset:648
	v_mad_legacy_u16 v77, v109, s7, v111
	v_lshlrev_b32_e32 v212, 2, v77
	v_lshrrev_b32_e32 v77, 16, v84
	v_mad_legacy_u16 v53, v53, s7, v116
	v_lshlrev_b32_e32 v214, 2, v53
	v_lshrrev_b32_e32 v53, 16, v90
	v_mul_f16_sdwa v108, v106, v55 dst_sel:DWORD dst_unused:UNUSED_PAD src0_sel:DWORD src1_sel:WORD_1
	v_fma_f16 v108, v76, v55, -v108
	v_mul_f16_sdwa v76, v76, v55 dst_sel:DWORD dst_unused:UNUSED_PAD src0_sel:DWORD src1_sel:WORD_1
	v_fma_f16 v76, v106, v55, v76
	v_mul_f16_sdwa v106, v83, v54 dst_sel:DWORD dst_unused:UNUSED_PAD src0_sel:DWORD src1_sel:WORD_1
	v_fma_f16 v106, v105, v54, v106
	v_mul_f16_sdwa v105, v105, v54 dst_sel:DWORD dst_unused:UNUSED_PAD src0_sel:DWORD src1_sel:WORD_1
	v_fma_f16 v83, v83, v54, -v105
	v_add_f16_e32 v128, v107, v106
	v_add_f16_e32 v105, v83, v108
	;; [unrolled: 1-line block ×3, first 2 shown]
	v_sub_f16_e32 v213, v106, v76
	v_add_f16_e32 v76, v106, v76
	v_fma_f16 v105, v105, -0.5, v82
	v_add_f16_e32 v82, v82, v83
	v_fma_f16 v76, v76, -0.5, v107
	v_sub_f16_e32 v83, v83, v108
	v_add_f16_e32 v82, v82, v108
	v_fma_f16 v93, v213, s0, v105
	v_fma_f16 v106, v83, s1, v76
	v_pack_b32_f16 v82, v82, v128
	v_pack_b32_f16 v93, v93, v106
	ds_write2_b32 v212, v82, v93 offset1:81
	v_mul_f16_sdwa v82, v77, v60 dst_sel:DWORD dst_unused:UNUSED_PAD src0_sel:DWORD src1_sel:WORD_1
	v_fma_f16 v82, v84, v60, -v82
	v_mul_f16_sdwa v84, v84, v60 dst_sel:DWORD dst_unused:UNUSED_PAD src0_sel:DWORD src1_sel:WORD_1
	v_fma_f16 v76, v83, s0, v76
	v_lshrrev_b32_e32 v83, 16, v87
	v_mul_f16_sdwa v93, v87, v61 dst_sel:DWORD dst_unused:UNUSED_PAD src0_sel:DWORD src1_sel:WORD_1
	v_fma_f16 v77, v77, v60, v84
	v_fma_f16 v84, v213, s1, v105
	;; [unrolled: 1-line block ×3, first 2 shown]
	v_lshrrev_b32_e32 v105, 16, v85
	v_mul_f16_sdwa v83, v83, v61 dst_sel:DWORD dst_unused:UNUSED_PAD src0_sel:DWORD src1_sel:WORD_1
	v_add_f16_e32 v106, v105, v77
	v_fma_f16 v83, v87, v61, -v83
	v_add_f16_e32 v106, v106, v93
	v_sub_f16_e32 v107, v77, v93
	v_add_f16_e32 v77, v77, v93
	v_add_f16_e32 v87, v85, v82
	;; [unrolled: 1-line block ×3, first 2 shown]
	v_fma_f16 v77, v77, -0.5, v105
	v_add_f16_e32 v87, v87, v83
	v_sub_f16_e32 v82, v82, v83
	v_pack_b32_f16 v76, v84, v76
	v_fma_f16 v84, v93, -0.5, v85
	ds_write_b32 v212, v76 offset:648
	v_mad_legacy_u16 v76, v113, s7, v115
	v_pack_b32_f16 v83, v87, v106
	v_fma_f16 v85, v107, s0, v84
	v_fma_f16 v87, v82, s1, v77
	v_pack_b32_f16 v85, v85, v87
	v_lshlrev_b32_e32 v213, 2, v76
	ds_write2_b32 v213, v83, v85 offset1:81
	v_lshrrev_b32_e32 v76, 16, v88
	v_mul_f16_sdwa v85, v88, v65 dst_sel:DWORD dst_unused:UNUSED_PAD src0_sel:DWORD src1_sel:WORD_1
	v_mul_f16_sdwa v83, v76, v65 dst_sel:DWORD dst_unused:UNUSED_PAD src0_sel:DWORD src1_sel:WORD_1
	v_fma_f16 v76, v76, v65, v85
	v_fma_f16 v77, v82, s0, v77
	v_lshrrev_b32_e32 v82, 16, v89
	v_mul_f16_sdwa v85, v89, v64 dst_sel:DWORD dst_unused:UNUSED_PAD src0_sel:DWORD src1_sel:WORD_1
	v_fma_f16 v83, v88, v65, -v83
	v_fma_f16 v85, v82, v64, v85
	v_mul_f16_sdwa v82, v82, v64 dst_sel:DWORD dst_unused:UNUSED_PAD src0_sel:DWORD src1_sel:WORD_1
	v_lshrrev_b32_e32 v88, 16, v86
	v_fma_f16 v82, v89, v64, -v82
	v_add_f16_e32 v89, v88, v85
	v_add_f16_e32 v87, v82, v83
	;; [unrolled: 1-line block ×3, first 2 shown]
	v_sub_f16_e32 v93, v85, v76
	v_add_f16_e32 v76, v85, v76
	v_fma_f16 v84, v107, s1, v84
	v_fma_f16 v87, v87, -0.5, v86
	v_add_f16_e32 v86, v86, v82
	v_fma_f16 v76, v76, -0.5, v88
	v_sub_f16_e32 v82, v82, v83
	v_add_f16_e32 v85, v86, v83
	v_pack_b32_f16 v77, v84, v77
	v_fma_f16 v83, v93, s0, v87
	v_fma_f16 v84, v82, s1, v76
	ds_write_b32 v213, v77 offset:648
	v_pack_b32_f16 v77, v85, v89
	v_pack_b32_f16 v83, v83, v84
	ds_write2_b32 v214, v77, v83 offset1:81
	v_mul_f16_sdwa v83, v90, v68 dst_sel:DWORD dst_unused:UNUSED_PAD src0_sel:DWORD src1_sel:WORD_1
	v_fma_f16 v76, v82, s0, v76
	v_lshrrev_b32_e32 v82, 16, v95
	v_mul_f16_sdwa v84, v95, v69 dst_sel:DWORD dst_unused:UNUSED_PAD src0_sel:DWORD src1_sel:WORD_1
	v_mul_f16_sdwa v77, v53, v68 dst_sel:DWORD dst_unused:UNUSED_PAD src0_sel:DWORD src1_sel:WORD_1
	v_fma_f16 v53, v53, v68, v83
	v_fma_f16 v84, v82, v69, v84
	v_lshrrev_b32_e32 v85, 16, v91
	v_mul_f16_sdwa v82, v82, v69 dst_sel:DWORD dst_unused:UNUSED_PAD src0_sel:DWORD src1_sel:WORD_1
	v_fma_f16 v77, v90, v68, -v77
	v_fma_f16 v83, v93, s1, v87
	v_add_f16_e32 v86, v85, v53
	v_sub_f16_e32 v87, v53, v84
	v_add_f16_e32 v53, v53, v84
	v_fma_f16 v82, v95, v69, -v82
	v_add_f16_e32 v86, v86, v84
	v_fma_f16 v53, v53, -0.5, v85
	v_add_f16_e32 v84, v91, v77
	v_add_f16_e32 v85, v77, v82
	;; [unrolled: 1-line block ×3, first 2 shown]
	v_sub_f16_e32 v77, v77, v82
	v_pack_b32_f16 v76, v83, v76
	v_fma_f16 v83, v85, -0.5, v91
	ds_write_b32 v214, v76 offset:648
	v_mad_legacy_u16 v76, v117, s7, v118
	v_pack_b32_f16 v82, v84, v86
	v_fma_f16 v84, v87, s0, v83
	v_fma_f16 v85, v77, s1, v53
	v_pack_b32_f16 v84, v84, v85
	v_lshlrev_b32_e32 v215, 2, v76
	ds_write2_b32 v215, v82, v84 offset1:81
	v_lshrrev_b32_e32 v76, 16, v96
	v_mul_f16_sdwa v84, v96, v71 dst_sel:DWORD dst_unused:UNUSED_PAD src0_sel:DWORD src1_sel:WORD_1
	v_mul_f16_sdwa v82, v76, v71 dst_sel:DWORD dst_unused:UNUSED_PAD src0_sel:DWORD src1_sel:WORD_1
	v_fma_f16 v76, v76, v71, v84
	v_fma_f16 v53, v77, s0, v53
	v_lshrrev_b32_e32 v77, 16, v97
	v_mul_f16_sdwa v84, v97, v70 dst_sel:DWORD dst_unused:UNUSED_PAD src0_sel:DWORD src1_sel:WORD_1
	v_fma_f16 v84, v77, v70, v84
	v_mul_f16_sdwa v77, v77, v70 dst_sel:DWORD dst_unused:UNUSED_PAD src0_sel:DWORD src1_sel:WORD_1
	v_lshrrev_b32_e32 v86, 16, v92
	v_fma_f16 v82, v96, v71, -v82
	v_fma_f16 v77, v97, v70, -v77
	v_add_f16_e32 v88, v86, v84
	v_fma_f16 v83, v87, s1, v83
	v_add_f16_e32 v85, v77, v82
	v_add_f16_e32 v87, v92, v77
	;; [unrolled: 1-line block ×3, first 2 shown]
	v_sub_f16_e32 v89, v84, v76
	v_add_f16_e32 v76, v84, v76
	v_fma_f16 v85, v85, -0.5, v92
	v_fma_f16 v76, v76, -0.5, v86
	v_add_f16_e32 v84, v87, v82
	v_sub_f16_e32 v77, v77, v82
	v_pack_b32_f16 v53, v83, v53
	ds_write_b32 v215, v53 offset:648
	v_mad_legacy_u16 v53, v120, s7, v121
	v_pack_b32_f16 v82, v84, v88
	v_fma_f16 v83, v89, s0, v85
	v_fma_f16 v84, v77, s1, v76
	v_pack_b32_f16 v83, v83, v84
	v_lshlrev_b32_e32 v216, 2, v53
	ds_write2_b32 v216, v82, v83 offset1:81
	v_lshrrev_b32_e32 v53, 16, v98
	v_mul_f16_sdwa v83, v98, v72 dst_sel:DWORD dst_unused:UNUSED_PAD src0_sel:DWORD src1_sel:WORD_1
	v_fma_f16 v76, v77, s0, v76
	v_lshrrev_b32_e32 v77, 16, v101
	v_mul_f16_sdwa v84, v101, v73 dst_sel:DWORD dst_unused:UNUSED_PAD src0_sel:DWORD src1_sel:WORD_1
	v_mul_f16_sdwa v82, v53, v72 dst_sel:DWORD dst_unused:UNUSED_PAD src0_sel:DWORD src1_sel:WORD_1
	v_fma_f16 v53, v53, v72, v83
	v_fma_f16 v83, v89, s1, v85
	;; [unrolled: 1-line block ×3, first 2 shown]
	v_lshrrev_b32_e32 v85, 16, v99
	v_mul_f16_sdwa v77, v77, v73 dst_sel:DWORD dst_unused:UNUSED_PAD src0_sel:DWORD src1_sel:WORD_1
	v_fma_f16 v82, v98, v72, -v82
	v_add_f16_e32 v86, v85, v53
	v_sub_f16_e32 v87, v53, v84
	v_add_f16_e32 v53, v53, v84
	v_fma_f16 v77, v101, v73, -v77
	v_add_f16_e32 v86, v86, v84
	v_fma_f16 v53, v53, -0.5, v85
	v_add_f16_e32 v84, v99, v82
	v_add_f16_e32 v85, v82, v77
	;; [unrolled: 1-line block ×3, first 2 shown]
	v_sub_f16_e32 v77, v82, v77
	v_pack_b32_f16 v76, v83, v76
	v_fma_f16 v83, v85, -0.5, v99
	ds_write_b32 v216, v76 offset:648
	v_mad_legacy_u16 v76, v122, s7, v123
	v_pack_b32_f16 v82, v84, v86
	v_fma_f16 v84, v87, s0, v83
	v_fma_f16 v85, v77, s1, v53
	v_pack_b32_f16 v84, v84, v85
	v_lshlrev_b32_e32 v218, 2, v76
	ds_write2_b32 v218, v82, v84 offset1:81
	v_lshrrev_b32_e32 v76, 16, v102
	v_mul_f16_sdwa v84, v102, v75 dst_sel:DWORD dst_unused:UNUSED_PAD src0_sel:DWORD src1_sel:WORD_1
	v_mul_f16_sdwa v82, v76, v75 dst_sel:DWORD dst_unused:UNUSED_PAD src0_sel:DWORD src1_sel:WORD_1
	v_fma_f16 v76, v76, v75, v84
	v_fma_f16 v53, v77, s0, v53
	v_lshrrev_b32_e32 v77, 16, v103
	v_mul_f16_sdwa v84, v103, v74 dst_sel:DWORD dst_unused:UNUSED_PAD src0_sel:DWORD src1_sel:WORD_1
	v_fma_f16 v84, v77, v74, v84
	v_mul_f16_sdwa v77, v77, v74 dst_sel:DWORD dst_unused:UNUSED_PAD src0_sel:DWORD src1_sel:WORD_1
	v_lshrrev_b32_e32 v86, 16, v100
	v_fma_f16 v82, v102, v75, -v82
	v_fma_f16 v77, v103, v74, -v77
	v_add_f16_e32 v88, v86, v84
	v_fma_f16 v83, v87, s1, v83
	v_add_f16_e32 v85, v77, v82
	v_add_f16_e32 v87, v100, v77
	;; [unrolled: 1-line block ×3, first 2 shown]
	v_sub_f16_e32 v89, v84, v76
	v_add_f16_e32 v76, v84, v76
	v_fma_f16 v85, v85, -0.5, v100
	v_fma_f16 v76, v76, -0.5, v86
	v_add_f16_e32 v84, v87, v82
	v_sub_f16_e32 v77, v77, v82
	v_pack_b32_f16 v53, v83, v53
	ds_write_b32 v218, v53 offset:648
	v_mad_legacy_u16 v53, v124, s7, v125
	v_pack_b32_f16 v82, v84, v88
	v_fma_f16 v83, v89, s0, v85
	v_fma_f16 v84, v77, s1, v76
	v_pack_b32_f16 v83, v83, v84
	v_lshlrev_b32_e32 v217, 2, v53
	ds_write2_b32 v217, v82, v83 offset1:81
	v_lshrrev_b32_e32 v53, 16, v104
	v_mul_f16_sdwa v83, v104, v80 dst_sel:DWORD dst_unused:UNUSED_PAD src0_sel:DWORD src1_sel:WORD_1
	v_mul_f16_sdwa v82, v53, v80 dst_sel:DWORD dst_unused:UNUSED_PAD src0_sel:DWORD src1_sel:WORD_1
	v_fma_f16 v53, v53, v80, v83
	v_lshrrev_b32_e32 v83, 16, v79
	v_mul_f16_sdwa v84, v83, v81 dst_sel:DWORD dst_unused:UNUSED_PAD src0_sel:DWORD src1_sel:WORD_1
	v_fma_f16 v84, v79, v81, -v84
	v_mul_f16_sdwa v79, v79, v81 dst_sel:DWORD dst_unused:UNUSED_PAD src0_sel:DWORD src1_sel:WORD_1
	v_fma_f16 v82, v104, v80, -v82
	v_fma_f16 v79, v83, v81, v79
	v_fma_f16 v83, v89, s1, v85
	v_lshrrev_b32_e32 v85, 16, v52
	v_fma_f16 v76, v77, s0, v76
	v_add_f16_e32 v77, v82, v84
	v_add_f16_e32 v86, v85, v53
	v_sub_f16_e32 v87, v53, v79
	v_add_f16_e32 v53, v53, v79
	v_fma_f16 v77, v77, -0.5, v52
	v_add_f16_e32 v52, v52, v82
	v_add_f16_e32 v86, v86, v79
	v_fma_f16 v53, v53, -0.5, v85
	v_sub_f16_e32 v79, v82, v84
	v_pack_b32_f16 v76, v83, v76
	v_add_f16_e32 v52, v52, v84
	ds_write_b32 v217, v76 offset:648
	v_mad_legacy_u16 v76, v126, s7, v127
	v_fma_f16 v82, v87, s0, v77
	v_fma_f16 v83, v79, s1, v53
	v_pack_b32_f16 v52, v52, v86
	v_pack_b32_f16 v82, v82, v83
	v_lshlrev_b32_e32 v219, 2, v76
	ds_write2_b32 v219, v52, v82 offset1:81
	v_fma_f16 v52, v87, s1, v77
	v_fma_f16 v53, v79, s0, v53
	v_pack_b32_f16 v52, v52, v53
	s_movk_i32 s7, 0xdb3
	ds_write_b32 v219, v52 offset:648
	v_mul_u32_u24_sdwa v52, v94, s7 dst_sel:DWORD dst_unused:UNUSED_PAD src0_sel:WORD_0 src1_sel:DWORD
	v_sub_u16_sdwa v53, v94, v52 dst_sel:DWORD dst_unused:UNUSED_PAD src0_sel:DWORD src1_sel:WORD_1
	v_lshrrev_b16_e32 v53, 1, v53
	v_add_u16_sdwa v82, v53, v52 dst_sel:DWORD dst_unused:UNUSED_PAD src0_sel:DWORD src1_sel:WORD_1
	v_mul_u32_u24_sdwa v52, v110, s7 dst_sel:DWORD dst_unused:UNUSED_PAD src0_sel:WORD_0 src1_sel:DWORD
	v_sub_u16_sdwa v53, v110, v52 dst_sel:DWORD dst_unused:UNUSED_PAD src0_sel:DWORD src1_sel:WORD_1
	v_lshrrev_b16_e32 v53, 1, v53
	v_add_u16_sdwa v84, v53, v52 dst_sel:DWORD dst_unused:UNUSED_PAD src0_sel:DWORD src1_sel:WORD_1
	;; [unrolled: 4-line block ×6, first 2 shown]
	v_mul_u32_u24_sdwa v52, v234, s7 dst_sel:DWORD dst_unused:UNUSED_PAD src0_sel:WORD_0 src1_sel:DWORD
	v_sub_u16_sdwa v53, v234, v52 dst_sel:DWORD dst_unused:UNUSED_PAD src0_sel:DWORD src1_sel:WORD_1
	v_lshrrev_b16_e32 v53, 1, v53
	v_lshlrev_b32_e32 v106, 3, v162
	v_add_u16_sdwa v79, v53, v52 dst_sel:DWORD dst_unused:UNUSED_PAD src0_sel:DWORD src1_sel:WORD_1
	s_waitcnt lgkmcnt(0)
	s_barrier
	global_load_dwordx2 v[52:53], v106, s[2:3] offset:960
	ds_read2_b32 v[76:77], v170 offset0:8 offset1:251
	ds_read2_b32 v[97:98], v167 offset0:6 offset1:249
	ds_read2_b32 v[99:100], v129 offset1:243
	v_lshrrev_b16_e32 v82, 7, v82
	v_mul_lo_u16_e32 v82, 0xf3, v82
	s_waitcnt lgkmcnt(2)
	v_lshrrev_b32_e32 v83, 16, v77
	s_waitcnt lgkmcnt(1)
	v_lshrrev_b32_e32 v87, 16, v97
	;; [unrolled: 2-line block ×3, first 2 shown]
	v_sub_u16_e32 v128, v94, v82
	v_lshrrev_b16_e32 v84, 7, v84
	v_lshlrev_b16_e32 v82, 3, v128
	v_mul_lo_u16_e32 v84, 0xf3, v84
	v_add_co_u32_e32 v82, vcc, s2, v82
	v_sub_u16_e32 v220, v110, v84
	v_lshrrev_b16_e32 v86, 7, v86
	v_lshlrev_b16_e32 v84, 3, v220
	v_mul_lo_u16_e32 v86, 0xf3, v86
	v_sub_u16_e32 v221, v112, v86
	v_lshlrev_b16_e32 v86, 3, v221
	v_lshrrev_b16_e32 v90, 7, v90
	v_mul_lo_u16_e32 v90, 0xf3, v90
	v_sub_u16_e32 v223, v114, v90
	v_lshrrev_b16_e32 v89, 7, v89
	v_lshlrev_b16_e32 v90, 3, v223
	v_mul_lo_u16_e32 v89, 0xf3, v89
	v_sub_u16_e32 v225, v235, v89
	v_lshrrev_b16_e32 v88, 7, v88
	v_lshlrev_b16_e32 v89, 3, v225
	;; [unrolled: 4-line block ×3, first 2 shown]
	v_mul_lo_u16_e32 v79, 0xf3, v79
	v_sub_u16_e32 v79, v234, v79
	v_lshlrev_b32_e32 v222, 2, v128
	v_add_u32_e32 v232, 0x16c0, v222
	v_lshlrev_b32_e32 v220, 2, v220
	v_add_u32_e32 v233, 0x2200, v220
	;; [unrolled: 2-line block ×5, first 2 shown]
	v_lshlrev_b32_e32 v228, 2, v228
	s_movk_i32 s7, 0x6799
	v_lshlrev_b32_e32 v112, 3, v112
	s_waitcnt vmcnt(0)
	v_mul_f16_sdwa v85, v77, v52 dst_sel:DWORD dst_unused:UNUSED_PAD src0_sel:DWORD src1_sel:WORD_1
	v_fma_f16 v85, v83, v52, v85
	v_mul_f16_sdwa v91, v97, v53 dst_sel:DWORD dst_unused:UNUSED_PAD src0_sel:DWORD src1_sel:WORD_1
	v_mul_f16_sdwa v83, v83, v52 dst_sel:DWORD dst_unused:UNUSED_PAD src0_sel:DWORD src1_sel:WORD_1
	v_fma_f16 v91, v87, v53, v91
	v_fma_f16 v77, v77, v52, -v83
	v_mul_f16_sdwa v83, v87, v53 dst_sel:DWORD dst_unused:UNUSED_PAD src0_sel:DWORD src1_sel:WORD_1
	v_add_f16_e32 v93, v92, v85
	v_sub_f16_e32 v105, v85, v91
	v_add_f16_e32 v85, v85, v91
	v_fma_f16 v83, v97, v53, -v83
	v_fma_f16 v109, v85, -0.5, v92
	v_add_f16_e32 v85, v99, v77
	v_add_f16_e32 v87, v77, v83
	;; [unrolled: 1-line block ×4, first 2 shown]
	v_sub_f16_e32 v77, v77, v83
	v_fma_f16 v99, v87, -0.5, v99
	v_pack_b32_f16 v111, v85, v93
	v_fma_f16 v83, v105, s0, v99
	v_fma_f16 v85, v77, s1, v109
	v_pack_b32_f16 v113, v83, v85
	v_addc_co_u32_e32 v83, vcc, 0, v239, vcc
	v_add_co_u32_e32 v84, vcc, s2, v84
	v_addc_co_u32_e32 v85, vcc, 0, v239, vcc
	v_add_co_u32_e32 v86, vcc, s2, v86
	v_addc_co_u32_e32 v87, vcc, 0, v239, vcc
	global_load_dwordx2 v[82:83], v[82:83], off offset:960
	s_nop 0
	global_load_dwordx2 v[84:85], v[84:85], off offset:960
	s_nop 0
	global_load_dwordx2 v[86:87], v[86:87], off offset:960
	v_add_co_u32_e32 v90, vcc, s2, v90
	v_addc_co_u32_e32 v91, vcc, 0, v239, vcc
	v_add_co_u32_e32 v92, vcc, s2, v89
	v_addc_co_u32_e32 v93, vcc, 0, v239, vcc
	;; [unrolled: 2-line block ×3, first 2 shown]
	v_lshlrev_b16_e32 v88, 3, v79
	v_add_co_u32_e32 v101, vcc, s2, v88
	v_addc_co_u32_e32 v102, vcc, 0, v239, vcc
	global_load_dwordx2 v[88:89], v[90:91], off offset:960
	s_nop 0
	global_load_dwordx2 v[90:91], v[92:93], off offset:960
	s_nop 0
	;; [unrolled: 2-line block ×3, first 2 shown]
	global_load_dwordx2 v[96:97], v[101:102], off offset:960
	ds_read_b32 v95, v129 offset:25272
	ds_read2_b32 v[101:102], v166 offset0:6 offset1:249
	ds_read2_b32 v[103:104], v163 offset0:6 offset1:249
	;; [unrolled: 1-line block ×9, first 2 shown]
	ds_read2_b32 v[229:230], v136 offset1:243
	s_waitcnt vmcnt(0) lgkmcnt(0)
	s_barrier
	ds_write2_b32 v129, v111, v113 offset1:243
	v_lshrrev_b32_e32 v111, 16, v98
	v_fma_f16 v99, v105, s1, v99
	v_fma_f16 v77, v77, s0, v109
	v_lshrrev_b32_e32 v105, 16, v101
	v_mul_f16_sdwa v109, v101, v52 dst_sel:DWORD dst_unused:UNUSED_PAD src0_sel:DWORD src1_sel:WORD_1
	v_mul_f16_sdwa v113, v111, v53 dst_sel:DWORD dst_unused:UNUSED_PAD src0_sel:DWORD src1_sel:WORD_1
	v_fma_f16 v109, v105, v52, v109
	v_mul_f16_sdwa v105, v105, v52 dst_sel:DWORD dst_unused:UNUSED_PAD src0_sel:DWORD src1_sel:WORD_1
	v_fma_f16 v113, v98, v53, -v113
	v_fma_f16 v101, v101, v52, -v105
	v_mul_f16_sdwa v98, v98, v53 dst_sel:DWORD dst_unused:UNUSED_PAD src0_sel:DWORD src1_sel:WORD_1
	v_add_f16_e32 v105, v101, v113
	v_fma_f16 v98, v111, v53, v98
	v_fma_f16 v105, v105, -0.5, v100
	v_lshrrev_b32_e32 v111, 16, v100
	v_add_f16_e32 v100, v100, v101
	v_pack_b32_f16 v77, v99, v77
	v_add_f16_e32 v99, v100, v113
	v_add_f16_e32 v100, v111, v109
	;; [unrolled: 1-line block ×3, first 2 shown]
	v_pack_b32_f16 v99, v99, v100
	ds_write2_b32 v163, v77, v99 offset0:6 offset1:249
	v_sub_f16_e32 v77, v109, v98
	v_add_f16_e32 v98, v109, v98
	v_fma_f16 v98, v98, -0.5, v111
	v_sub_f16_e32 v100, v101, v113
	v_fma_f16 v99, v77, s0, v105
	v_fma_f16 v77, v77, s1, v105
	;; [unrolled: 1-line block ×4, first 2 shown]
	v_pack_b32_f16 v99, v99, v101
	v_pack_b32_f16 v77, v77, v98
	ds_write2_b32 v154, v99, v77 offset0:12 offset1:255
	v_lshrrev_b32_e32 v77, 16, v102
	v_lshrrev_b32_e32 v101, 16, v103
	v_mul_f16_sdwa v99, v102, v82 dst_sel:DWORD dst_unused:UNUSED_PAD src0_sel:DWORD src1_sel:WORD_1
	v_mul_f16_sdwa v98, v77, v82 dst_sel:DWORD dst_unused:UNUSED_PAD src0_sel:DWORD src1_sel:WORD_1
	v_fma_f16 v77, v77, v82, v99
	v_lshrrev_b32_e32 v99, 16, v107
	v_mul_f16_sdwa v100, v107, v83 dst_sel:DWORD dst_unused:UNUSED_PAD src0_sel:DWORD src1_sel:WORD_1
	v_fma_f16 v98, v102, v82, -v98
	v_fma_f16 v100, v99, v83, v100
	v_add_f16_e32 v102, v101, v77
	v_mul_f16_sdwa v99, v99, v83 dst_sel:DWORD dst_unused:UNUSED_PAD src0_sel:DWORD src1_sel:WORD_1
	v_add_f16_e32 v102, v102, v100
	v_sub_f16_e32 v105, v77, v100
	v_add_f16_e32 v77, v77, v100
	v_fma_f16 v99, v107, v83, -v99
	v_add_f16_e32 v100, v103, v98
	v_fma_f16 v77, v77, -0.5, v101
	v_add_f16_e32 v100, v100, v99
	v_add_f16_e32 v101, v98, v99
	v_sub_f16_e32 v98, v98, v99
	v_pack_b32_f16 v99, v100, v102
	v_fma_f16 v100, v101, -0.5, v103
	v_fma_f16 v101, v105, s0, v100
	v_fma_f16 v102, v98, s1, v77
	v_pack_b32_f16 v101, v101, v102
	ds_write2_b32 v232, v99, v101 offset0:2 offset1:245
	v_lshrrev_b32_e32 v99, 16, v108
	v_mul_f16_sdwa v102, v108, v85 dst_sel:DWORD dst_unused:UNUSED_PAD src0_sel:DWORD src1_sel:WORD_1
	v_mul_f16_sdwa v101, v99, v85 dst_sel:DWORD dst_unused:UNUSED_PAD src0_sel:DWORD src1_sel:WORD_1
	v_fma_f16 v99, v99, v85, v102
	v_lshrrev_b32_e32 v102, 16, v115
	v_mul_f16_sdwa v103, v115, v84 dst_sel:DWORD dst_unused:UNUSED_PAD src0_sel:DWORD src1_sel:WORD_1
	v_fma_f16 v103, v102, v84, v103
	v_mul_f16_sdwa v102, v102, v84 dst_sel:DWORD dst_unused:UNUSED_PAD src0_sel:DWORD src1_sel:WORD_1
	v_fma_f16 v101, v108, v85, -v101
	v_fma_f16 v102, v115, v84, -v102
	v_lshrrev_b32_e32 v108, 16, v104
	v_add_f16_e32 v107, v102, v101
	v_add_f16_e32 v109, v108, v103
	v_fma_f16 v107, v107, -0.5, v104
	v_add_f16_e32 v104, v104, v102
	v_add_f16_e32 v109, v109, v99
	v_sub_f16_e32 v111, v103, v99
	v_add_f16_e32 v99, v103, v99
	v_fma_f16 v99, v99, -0.5, v108
	v_add_f16_e32 v103, v104, v101
	v_sub_f16_e32 v101, v102, v101
	v_pack_b32_f16 v102, v103, v109
	v_fma_f16 v103, v111, s0, v107
	v_fma_f16 v104, v101, s1, v99
	v_pack_b32_f16 v103, v103, v104
	ds_write2_b32 v233, v102, v103 offset0:11 offset1:254
	v_lshrrev_b32_e32 v102, 16, v116
	v_mul_f16_sdwa v104, v116, v86 dst_sel:DWORD dst_unused:UNUSED_PAD src0_sel:DWORD src1_sel:WORD_1
	v_mul_f16_sdwa v103, v102, v86 dst_sel:DWORD dst_unused:UNUSED_PAD src0_sel:DWORD src1_sel:WORD_1
	v_fma_f16 v102, v102, v86, v104
	v_lshrrev_b32_e32 v104, 16, v120
	v_mul_f16_sdwa v108, v120, v87 dst_sel:DWORD dst_unused:UNUSED_PAD src0_sel:DWORD src1_sel:WORD_1
	v_lshrrev_b32_e32 v109, 16, v117
	v_fma_f16 v103, v116, v86, -v103
	v_fma_f16 v108, v104, v87, v108
	v_add_f16_e32 v113, v109, v102
	v_mul_f16_sdwa v104, v104, v87 dst_sel:DWORD dst_unused:UNUSED_PAD src0_sel:DWORD src1_sel:WORD_1
	v_add_f16_e32 v113, v113, v108
	v_sub_f16_e32 v115, v102, v108
	v_add_f16_e32 v102, v102, v108
	v_fma_f16 v104, v120, v87, -v104
	v_add_f16_e32 v108, v117, v103
	v_fma_f16 v102, v102, -0.5, v109
	v_add_f16_e32 v108, v108, v104
	v_add_f16_e32 v109, v103, v104
	v_sub_f16_e32 v103, v103, v104
	v_pack_b32_f16 v104, v108, v113
	v_fma_f16 v108, v109, -0.5, v117
	v_fma_f16 v109, v115, s0, v108
	v_fma_f16 v113, v103, s1, v102
	v_pack_b32_f16 v109, v109, v113
	ds_write2_b32 v169, v104, v109 offset0:4 offset1:247
	v_lshrrev_b32_e32 v104, 16, v121
	v_mul_f16_sdwa v113, v121, v89 dst_sel:DWORD dst_unused:UNUSED_PAD src0_sel:DWORD src1_sel:WORD_1
	v_mul_f16_sdwa v109, v104, v89 dst_sel:DWORD dst_unused:UNUSED_PAD src0_sel:DWORD src1_sel:WORD_1
	v_fma_f16 v104, v104, v89, v113
	v_lshrrev_b32_e32 v113, 16, v122
	v_mul_f16_sdwa v116, v122, v88 dst_sel:DWORD dst_unused:UNUSED_PAD src0_sel:DWORD src1_sel:WORD_1
	v_fma_f16 v116, v113, v88, v116
	v_mul_f16_sdwa v113, v113, v88 dst_sel:DWORD dst_unused:UNUSED_PAD src0_sel:DWORD src1_sel:WORD_1
	v_fma_f16 v109, v121, v89, -v109
	v_fma_f16 v113, v122, v88, -v113
	v_lshrrev_b32_e32 v120, 16, v118
	v_add_f16_e32 v117, v113, v109
	v_add_f16_e32 v121, v120, v116
	v_fma_f16 v117, v117, -0.5, v118
	v_add_f16_e32 v118, v118, v113
	v_add_f16_e32 v121, v121, v104
	v_sub_f16_e32 v122, v116, v104
	v_add_f16_e32 v104, v116, v104
	v_fma_f16 v104, v104, -0.5, v120
	v_add_f16_e32 v116, v118, v109
	v_sub_f16_e32 v109, v113, v109
	v_pack_b32_f16 v113, v116, v121
	v_fma_f16 v116, v122, s0, v117
	v_fma_f16 v118, v109, s1, v104
	v_pack_b32_f16 v116, v116, v118
	ds_write2_b32 v224, v113, v116 offset0:5 offset1:248
	v_lshrrev_b32_e32 v113, 16, v123
	v_mul_f16_sdwa v118, v123, v90 dst_sel:DWORD dst_unused:UNUSED_PAD src0_sel:DWORD src1_sel:WORD_1
	v_mul_f16_sdwa v116, v113, v90 dst_sel:DWORD dst_unused:UNUSED_PAD src0_sel:DWORD src1_sel:WORD_1
	v_fma_f16 v113, v113, v90, v118
	v_lshrrev_b32_e32 v118, 16, v126
	v_mul_f16_sdwa v120, v126, v91 dst_sel:DWORD dst_unused:UNUSED_PAD src0_sel:DWORD src1_sel:WORD_1
	v_lshrrev_b32_e32 v121, 16, v124
	v_fma_f16 v116, v123, v90, -v116
	v_fma_f16 v120, v118, v91, v120
	v_add_f16_e32 v123, v121, v113
	v_mul_f16_sdwa v118, v118, v91 dst_sel:DWORD dst_unused:UNUSED_PAD src0_sel:DWORD src1_sel:WORD_1
	v_add_f16_e32 v123, v123, v120
	v_sub_f16_e32 v128, v113, v120
	v_add_f16_e32 v113, v113, v120
	v_fma_f16 v118, v126, v91, -v118
	v_add_f16_e32 v120, v124, v116
	v_fma_f16 v113, v113, -0.5, v121
	v_add_f16_e32 v120, v120, v118
	v_add_f16_e32 v121, v116, v118
	v_sub_f16_e32 v116, v116, v118
	v_pack_b32_f16 v118, v120, v123
	v_fma_f16 v120, v121, -0.5, v124
	v_fma_f16 v121, v128, s0, v120
	v_fma_f16 v123, v116, s1, v113
	v_pack_b32_f16 v121, v121, v123
	ds_write2_b32 v227, v118, v121 offset0:6 offset1:249
	v_lshrrev_b32_e32 v118, 16, v127
	v_mul_f16_sdwa v123, v127, v93 dst_sel:DWORD dst_unused:UNUSED_PAD src0_sel:DWORD src1_sel:WORD_1
	v_mul_f16_sdwa v121, v118, v93 dst_sel:DWORD dst_unused:UNUSED_PAD src0_sel:DWORD src1_sel:WORD_1
	v_fma_f16 v118, v118, v93, v123
	v_lshrrev_b32_e32 v123, 16, v229
	v_mul_f16_sdwa v124, v229, v92 dst_sel:DWORD dst_unused:UNUSED_PAD src0_sel:DWORD src1_sel:WORD_1
	v_fma_f16 v124, v123, v92, v124
	v_mul_f16_sdwa v123, v123, v92 dst_sel:DWORD dst_unused:UNUSED_PAD src0_sel:DWORD src1_sel:WORD_1
	v_fma_f16 v121, v127, v93, -v121
	v_fma_f16 v123, v229, v92, -v123
	v_lshrrev_b32_e32 v127, 16, v125
	v_add_f16_e32 v126, v123, v121
	v_add_f16_e32 v229, v127, v124
	v_fma_f16 v126, v126, -0.5, v125
	v_add_f16_e32 v125, v125, v123
	v_add_f16_e32 v229, v229, v118
	v_sub_f16_e32 v236, v124, v118
	v_add_f16_e32 v118, v124, v118
	v_fma_f16 v118, v118, -0.5, v127
	v_add_f16_e32 v124, v125, v121
	v_sub_f16_e32 v121, v123, v121
	v_pack_b32_f16 v123, v124, v229
	v_fma_f16 v124, v236, s0, v126
	v_fma_f16 v125, v121, s1, v118
	v_pack_b32_f16 v124, v124, v125
	v_add_u32_e32 v229, 0x4fa0, v228
	ds_write2_b32 v229, v123, v124 offset0:7 offset1:250
	v_lshrrev_b32_e32 v123, 16, v230
	v_mul_f16_sdwa v125, v230, v96 dst_sel:DWORD dst_unused:UNUSED_PAD src0_sel:DWORD src1_sel:WORD_1
	v_mul_f16_sdwa v124, v123, v96 dst_sel:DWORD dst_unused:UNUSED_PAD src0_sel:DWORD src1_sel:WORD_1
	v_fma_f16 v123, v123, v96, v125
	v_lshrrev_b32_e32 v125, 16, v95
	v_mul_f16_sdwa v127, v125, v97 dst_sel:DWORD dst_unused:UNUSED_PAD src0_sel:DWORD src1_sel:WORD_1
	v_fma_f16 v124, v230, v96, -v124
	v_fma_f16 v127, v95, v97, -v127
	v_mul_f16_sdwa v95, v95, v97 dst_sel:DWORD dst_unused:UNUSED_PAD src0_sel:DWORD src1_sel:WORD_1
	v_lshrrev_b32_e32 v230, 16, v76
	v_fma_f16 v95, v125, v97, v95
	v_add_f16_e32 v231, v230, v123
	v_add_f16_e32 v125, v124, v127
	;; [unrolled: 1-line block ×3, first 2 shown]
	v_sub_f16_e32 v237, v123, v95
	v_add_f16_e32 v95, v123, v95
	v_fma_f16 v125, v125, -0.5, v76
	v_add_f16_e32 v76, v76, v124
	v_fma_f16 v95, v95, -0.5, v230
	v_sub_f16_e32 v123, v124, v127
	v_add_f16_e32 v76, v76, v127
	v_fma_f16 v124, v237, s0, v125
	v_fma_f16 v127, v123, s1, v95
	v_lshlrev_b32_e32 v230, 2, v79
	v_pack_b32_f16 v76, v76, v231
	v_pack_b32_f16 v124, v124, v127
	v_add_u32_e32 v231, 0x5b00, v230
	ds_write2_b32 v231, v76, v124 offset0:8 offset1:251
	v_fma_f16 v76, v105, s1, v100
	v_fma_f16 v77, v98, s0, v77
	;; [unrolled: 1-line block ×4, first 2 shown]
	v_pack_b32_f16 v76, v76, v77
	v_fma_f16 v99, v115, s1, v108
	v_fma_f16 v100, v103, s0, v102
	ds_write_b32 v222, v76 offset:7776
	v_pack_b32_f16 v76, v79, v98
	v_fma_f16 v101, v122, s1, v117
	v_fma_f16 v102, v109, s0, v104
	ds_write_b32 v220, v76 offset:10692
	;; [unrolled: 4-line block ×5, first 2 shown]
	v_pack_b32_f16 v76, v105, v107
	ds_write_b32 v228, v76 offset:22356
	v_pack_b32_f16 v76, v108, v95
	ds_write_b32 v230, v76 offset:25272
	v_mul_u32_u24_sdwa v76, v235, s7 dst_sel:DWORD dst_unused:UNUSED_PAD src0_sel:WORD_0 src1_sel:DWORD
	v_sub_u16_sdwa v77, v235, v76 dst_sel:DWORD dst_unused:UNUSED_PAD src0_sel:DWORD src1_sel:WORD_1
	v_lshrrev_b16_e32 v77, 1, v77
	v_add_u16_sdwa v95, v77, v76 dst_sel:DWORD dst_unused:UNUSED_PAD src0_sel:DWORD src1_sel:WORD_1
	s_waitcnt lgkmcnt(0)
	s_barrier
	global_load_dwordx2 v[76:77], v106, s[2:3] offset:2904
	ds_read2_b32 v[98:99], v167 offset0:6 offset1:249
	v_lshlrev_b32_e32 v107, 3, v78
	ds_read2_b32 v[104:105], v170 offset0:8 offset1:251
	s_waitcnt lgkmcnt(1)
	v_lshrrev_b32_e32 v78, 16, v98
	s_waitcnt vmcnt(0)
	v_mul_f16_sdwa v79, v98, v77 dst_sel:DWORD dst_unused:UNUSED_PAD src0_sel:DWORD src1_sel:WORD_1
	v_fma_f16 v100, v78, v77, v79
	v_mul_f16_sdwa v78, v78, v77 dst_sel:DWORD dst_unused:UNUSED_PAD src0_sel:DWORD src1_sel:WORD_1
	v_fma_f16 v101, v98, v77, -v78
	global_load_dwordx2 v[78:79], v107, s[2:3] offset:2904
	v_lshrrev_b32_e32 v98, 16, v99
	s_waitcnt vmcnt(0)
	v_mul_f16_sdwa v102, v98, v79 dst_sel:DWORD dst_unused:UNUSED_PAD src0_sel:DWORD src1_sel:WORD_1
	v_fma_f16 v111, v99, v79, -v102
	v_mul_f16_sdwa v99, v99, v79 dst_sel:DWORD dst_unused:UNUSED_PAD src0_sel:DWORD src1_sel:WORD_1
	v_fma_f16 v113, v98, v79, v99
	v_mul_u32_u24_sdwa v98, v119, s7 dst_sel:DWORD dst_unused:UNUSED_PAD src0_sel:WORD_0 src1_sel:DWORD
	v_sub_u16_sdwa v99, v119, v98 dst_sel:DWORD dst_unused:UNUSED_PAD src0_sel:DWORD src1_sel:WORD_1
	v_lshrrev_b16_e32 v99, 1, v99
	v_add_u16_sdwa v102, v99, v98 dst_sel:DWORD dst_unused:UNUSED_PAD src0_sel:DWORD src1_sel:WORD_1
	v_mul_u32_u24_sdwa v98, v234, s7 dst_sel:DWORD dst_unused:UNUSED_PAD src0_sel:WORD_0 src1_sel:DWORD
	v_sub_u16_sdwa v99, v234, v98 dst_sel:DWORD dst_unused:UNUSED_PAD src0_sel:DWORD src1_sel:WORD_1
	v_lshrrev_b16_e32 v99, 1, v99
	v_add_u16_sdwa v103, v99, v98 dst_sel:DWORD dst_unused:UNUSED_PAD src0_sel:DWORD src1_sel:WORD_1
	s_waitcnt lgkmcnt(0)
	v_lshrrev_b32_e32 v98, 16, v105
	v_mul_f16_sdwa v99, v105, v76 dst_sel:DWORD dst_unused:UNUSED_PAD src0_sel:DWORD src1_sel:WORD_1
	v_fma_f16 v108, v98, v76, v99
	v_mul_f16_sdwa v98, v98, v76 dst_sel:DWORD dst_unused:UNUSED_PAD src0_sel:DWORD src1_sel:WORD_1
	v_fma_f16 v105, v105, v76, -v98
	ds_read2_b32 v[98:99], v129 offset1:243
	v_add_f16_e32 v109, v105, v101
	v_sub_f16_e32 v115, v108, v100
	s_movk_i32 s7, 0x1ff
	s_waitcnt lgkmcnt(0)
	v_fma_f16 v109, v109, -0.5, v98
	v_fma_f16 v116, v115, s0, v109
	v_fma_f16 v128, v115, s1, v109
	v_lshrrev_b32_e32 v109, 16, v98
	v_add_f16_e32 v115, v109, v108
	v_add_f16_e32 v115, v115, v100
	;; [unrolled: 1-line block ×3, first 2 shown]
	v_fma_f16 v100, v100, -0.5, v109
	ds_read2_b32 v[108:109], v166 offset0:6 offset1:249
	v_add_f16_e32 v98, v98, v105
	v_add_f16_e32 v98, v98, v101
	v_sub_f16_e32 v101, v105, v101
	v_fma_f16 v105, v101, s1, v100
	v_fma_f16 v238, v101, s0, v100
	s_waitcnt lgkmcnt(0)
	v_lshrrev_b32_e32 v100, 16, v108
	v_mul_f16_sdwa v101, v108, v78 dst_sel:DWORD dst_unused:UNUSED_PAD src0_sel:DWORD src1_sel:WORD_1
	v_fma_f16 v244, v100, v78, v101
	v_mul_f16_sdwa v100, v100, v78 dst_sel:DWORD dst_unused:UNUSED_PAD src0_sel:DWORD src1_sel:WORD_1
	v_fma_f16 v245, v108, v78, -v100
	v_lshlrev_b32_e32 v108, 3, v94
	v_lshrrev_b16_e32 v94, 9, v95
	v_mul_lo_u16_e32 v94, 0x2d9, v94
	v_sub_u16_e32 v250, v235, v94
	v_lshlrev_b16_e32 v94, 3, v250
	v_add_co_u32_e32 v94, vcc, s2, v94
	v_add_f16_e32 v100, v245, v111
	v_addc_co_u32_e32 v95, vcc, 0, v239, vcc
	v_fma_f16 v246, v100, -0.5, v99
	global_load_dwordx2 v[100:101], v[94:95], off offset:2904
	v_lshrrev_b16_e32 v94, 9, v102
	v_mul_lo_u16_e32 v94, 0x2d9, v94
	v_pack_b32_f16 v249, v98, v115
	v_sub_u16_e32 v251, v119, v94
	v_lshrrev_b16_e32 v98, 9, v103
	v_lshlrev_b16_e32 v94, 3, v251
	v_mul_lo_u16_e32 v98, 0x2d9, v98
	v_add_co_u32_e32 v94, vcc, s2, v94
	v_sub_u16_e32 v252, v234, v98
	v_addc_co_u32_e32 v95, vcc, 0, v239, vcc
	v_lshlrev_b16_e32 v98, 3, v252
	v_add_co_u32_e32 v102, vcc, s2, v98
	v_addc_co_u32_e32 v103, vcc, 0, v239, vcc
	v_lshrrev_b32_e32 v247, 16, v99
	v_add_f16_e32 v248, v99, v245
	global_load_dwordx2 v[98:99], v[94:95], off offset:2904
	s_nop 0
	global_load_dwordx2 v[94:95], v[102:103], off offset:2904
	v_pack_b32_f16 v105, v116, v105
	global_load_dwordx2 v[102:103], v108, s[2:3] offset:2904
	ds_read_b32 v253, v129 offset:25272
	ds_read2_b32 v[115:116], v163 offset0:6 offset1:249
	ds_read2_b32 v[117:118], v164 offset0:12 offset1:255
	;; [unrolled: 1-line block ×8, first 2 shown]
	ds_read2_b32 v[242:243], v136 offset1:243
	s_waitcnt vmcnt(0) lgkmcnt(0)
	s_barrier
	ds_write_b32 v129, v105 offset:2916
	v_pack_b32_f16 v105, v128, v238
	v_add_f16_e32 v128, v247, v244
	ds_write_b32 v129, v105 offset:5832
	v_add_f16_e32 v105, v248, v111
	v_add_f16_e32 v128, v128, v113
	v_pack_b32_f16 v105, v105, v128
	ds_write2_b32 v129, v249, v105 offset1:243
	v_lshrrev_b32_e32 v105, 16, v109
	v_sub_f16_e32 v111, v245, v111
	v_mul_f16_sdwa v128, v105, v102 dst_sel:DWORD dst_unused:UNUSED_PAD src0_sel:DWORD src1_sel:WORD_1
	v_fma_f16 v128, v109, v102, -v128
	v_mul_f16_sdwa v109, v109, v102 dst_sel:DWORD dst_unused:UNUSED_PAD src0_sel:DWORD src1_sel:WORD_1
	v_fma_f16 v105, v105, v102, v109
	v_sub_f16_e32 v109, v244, v113
	v_add_f16_e32 v113, v244, v113
	v_fma_f16 v113, v113, -0.5, v247
	v_fma_f16 v244, v111, s1, v113
	v_fma_f16 v111, v111, s0, v113
	v_lshrrev_b32_e32 v113, 16, v117
	v_mul_f16_sdwa v245, v117, v103 dst_sel:DWORD dst_unused:UNUSED_PAD src0_sel:DWORD src1_sel:WORD_1
	v_fma_f16 v238, v109, s0, v246
	v_fma_f16 v109, v109, s1, v246
	;; [unrolled: 1-line block ×3, first 2 shown]
	v_lshrrev_b32_e32 v246, 16, v115
	v_mul_f16_sdwa v113, v113, v103 dst_sel:DWORD dst_unused:UNUSED_PAD src0_sel:DWORD src1_sel:WORD_1
	v_add_f16_e32 v247, v246, v105
	v_fma_f16 v113, v117, v103, -v113
	v_add_f16_e32 v117, v115, v128
	v_add_f16_e32 v247, v247, v245
	;; [unrolled: 1-line block ×3, first 2 shown]
	v_pack_b32_f16 v109, v109, v111
	v_sub_f16_e32 v248, v105, v245
	v_add_f16_e32 v105, v105, v245
	v_add_f16_e32 v245, v128, v113
	ds_write_b32 v129, v109 offset:6804
	v_pack_b32_f16 v109, v117, v247
	v_fma_f16 v105, v105, -0.5, v246
	v_sub_f16_e32 v113, v128, v113
	ds_write_b32 v129, v109 offset:1944
	v_fma_f16 v109, v245, -0.5, v115
	v_fma_f16 v111, v248, s0, v109
	v_fma_f16 v115, v113, s1, v105
	v_pack_b32_f16 v128, v238, v244
	v_pack_b32_f16 v111, v111, v115
	ds_write2_b32 v154, v128, v111 offset0:12 offset1:255
	v_lshrrev_b32_e32 v111, 16, v118
	v_mul_f16_sdwa v117, v118, v77 dst_sel:DWORD dst_unused:UNUSED_PAD src0_sel:DWORD src1_sel:WORD_1
	v_mul_f16_sdwa v115, v111, v77 dst_sel:DWORD dst_unused:UNUSED_PAD src0_sel:DWORD src1_sel:WORD_1
	v_fma_f16 v111, v111, v77, v117
	v_fma_f16 v105, v113, s0, v105
	v_lshrrev_b32_e32 v113, 16, v120
	v_mul_f16_sdwa v117, v120, v76 dst_sel:DWORD dst_unused:UNUSED_PAD src0_sel:DWORD src1_sel:WORD_1
	v_fma_f16 v117, v113, v76, v117
	v_mul_f16_sdwa v113, v113, v76 dst_sel:DWORD dst_unused:UNUSED_PAD src0_sel:DWORD src1_sel:WORD_1
	v_fma_f16 v115, v118, v77, -v115
	v_fma_f16 v113, v120, v76, -v113
	v_add_f16_e32 v118, v113, v115
	v_fma_f16 v109, v248, s1, v109
	v_fma_f16 v118, v118, -0.5, v116
	v_lshrrev_b32_e32 v120, 16, v116
	v_add_f16_e32 v116, v116, v113
	v_pack_b32_f16 v105, v109, v105
	v_add_f16_e32 v109, v116, v115
	v_add_f16_e32 v116, v120, v117
	;; [unrolled: 1-line block ×3, first 2 shown]
	v_pack_b32_f16 v109, v109, v116
	ds_write2_b32 v170, v105, v109 offset0:8 offset1:251
	v_lshrrev_b32_e32 v105, 16, v121
	v_mul_f16_sdwa v116, v121, v78 dst_sel:DWORD dst_unused:UNUSED_PAD src0_sel:DWORD src1_sel:WORD_1
	v_mul_f16_sdwa v109, v105, v78 dst_sel:DWORD dst_unused:UNUSED_PAD src0_sel:DWORD src1_sel:WORD_1
	v_fma_f16 v105, v105, v78, v116
	v_sub_f16_e32 v116, v117, v111
	v_add_f16_e32 v111, v117, v111
	v_fma_f16 v111, v111, -0.5, v120
	v_sub_f16_e32 v113, v113, v115
	v_fma_f16 v115, v116, s0, v118
	v_fma_f16 v117, v113, s1, v111
	v_pack_b32_f16 v115, v115, v117
	v_lshrrev_b32_e32 v117, 16, v124
	v_mul_f16_sdwa v120, v124, v79 dst_sel:DWORD dst_unused:UNUSED_PAD src0_sel:DWORD src1_sel:WORD_1
	v_fma_f16 v120, v117, v79, v120
	v_mul_f16_sdwa v117, v117, v79 dst_sel:DWORD dst_unused:UNUSED_PAD src0_sel:DWORD src1_sel:WORD_1
	v_fma_f16 v109, v121, v78, -v109
	v_fma_f16 v117, v124, v79, -v117
	v_add_f16_e32 v121, v109, v117
	v_lshrrev_b32_e32 v124, 16, v122
	v_add_f16_e32 v128, v105, v120
	v_fma_f16 v121, v121, -0.5, v122
	v_fma_f16 v128, v128, -0.5, v124
	v_sub_f16_e32 v238, v105, v120
	v_sub_f16_e32 v245, v109, v117
	v_fma_f16 v244, v238, s0, v121
	v_fma_f16 v246, v245, s1, v128
	v_pack_b32_f16 v244, v244, v246
	v_add_f16_e32 v109, v122, v109
	v_add_f16_e32 v105, v124, v105
	ds_write2_b32 v157, v115, v244 offset0:4 offset1:247
	v_lshrrev_b32_e32 v115, 16, v125
	v_add_f16_e32 v109, v109, v117
	v_add_f16_e32 v105, v105, v120
	v_lshrrev_b32_e32 v117, 16, v126
	v_mul_f16_sdwa v120, v126, v102 dst_sel:DWORD dst_unused:UNUSED_PAD src0_sel:DWORD src1_sel:WORD_1
	v_mul_f16_sdwa v244, v115, v103 dst_sel:DWORD dst_unused:UNUSED_PAD src0_sel:DWORD src1_sel:WORD_1
	v_fma_f16 v120, v117, v102, v120
	v_mul_f16_sdwa v117, v117, v102 dst_sel:DWORD dst_unused:UNUSED_PAD src0_sel:DWORD src1_sel:WORD_1
	v_fma_f16 v244, v125, v103, -v244
	v_fma_f16 v117, v126, v102, -v117
	v_add_f16_e32 v122, v117, v244
	v_mul_f16_sdwa v125, v125, v103 dst_sel:DWORD dst_unused:UNUSED_PAD src0_sel:DWORD src1_sel:WORD_1
	v_fma_f16 v122, v122, -0.5, v123
	v_lshrrev_b32_e32 v124, 16, v123
	v_add_f16_e32 v123, v123, v117
	v_fma_f16 v115, v115, v103, v125
	v_pack_b32_f16 v105, v109, v105
	v_add_f16_e32 v109, v123, v244
	v_add_f16_e32 v123, v124, v120
	;; [unrolled: 1-line block ×3, first 2 shown]
	v_pack_b32_f16 v109, v109, v123
	ds_write2_b32 v166, v105, v109 offset0:6 offset1:249
	v_fma_f16 v109, v113, s0, v111
	v_add_f16_e32 v113, v120, v115
	v_fma_f16 v105, v116, s1, v118
	v_sub_f16_e32 v111, v120, v115
	v_fma_f16 v113, v113, -0.5, v124
	v_sub_f16_e32 v115, v117, v244
	v_pack_b32_f16 v105, v105, v109
	v_fma_f16 v109, v111, s0, v122
	v_fma_f16 v116, v115, s1, v113
	v_pack_b32_f16 v109, v109, v116
	ds_write2_b32 v147, v109, v105 offset0:10 offset1:253
	v_fma_f16 v105, v238, s1, v121
	v_fma_f16 v109, v245, s0, v128
	;; [unrolled: 1-line block ×4, first 2 shown]
	v_pack_b32_f16 v105, v105, v109
	v_pack_b32_f16 v109, v111, v113
	ds_write2_b32 v136, v105, v109 offset1:243
	v_lshrrev_b32_e32 v105, 16, v127
	v_mul_f16_sdwa v111, v127, v100 dst_sel:DWORD dst_unused:UNUSED_PAD src0_sel:DWORD src1_sel:WORD_1
	v_mul_f16_sdwa v109, v105, v100 dst_sel:DWORD dst_unused:UNUSED_PAD src0_sel:DWORD src1_sel:WORD_1
	v_fma_f16 v105, v105, v100, v111
	v_lshrrev_b32_e32 v111, 16, v240
	v_mul_f16_sdwa v113, v240, v101 dst_sel:DWORD dst_unused:UNUSED_PAD src0_sel:DWORD src1_sel:WORD_1
	v_fma_f16 v113, v111, v101, v113
	v_mul_f16_sdwa v111, v111, v101 dst_sel:DWORD dst_unused:UNUSED_PAD src0_sel:DWORD src1_sel:WORD_1
	v_lshrrev_b32_e32 v120, 16, v243
	v_mul_f16_sdwa v122, v243, v94 dst_sel:DWORD dst_unused:UNUSED_PAD src0_sel:DWORD src1_sel:WORD_1
	v_fma_f16 v109, v127, v100, -v109
	v_fma_f16 v111, v240, v101, -v111
	v_mul_f16_sdwa v121, v120, v94 dst_sel:DWORD dst_unused:UNUSED_PAD src0_sel:DWORD src1_sel:WORD_1
	v_fma_f16 v120, v120, v94, v122
	v_lshrrev_b32_e32 v122, 16, v253
	v_mul_f16_sdwa v124, v253, v95 dst_sel:DWORD dst_unused:UNUSED_PAD src0_sel:DWORD src1_sel:WORD_1
	v_mul_f16_sdwa v123, v122, v95 dst_sel:DWORD dst_unused:UNUSED_PAD src0_sel:DWORD src1_sel:WORD_1
	v_fma_f16 v122, v122, v95, v124
	v_add_f16_e32 v124, v109, v111
	v_lshrrev_b32_e32 v115, 16, v241
	v_mul_f16_sdwa v117, v241, v99 dst_sel:DWORD dst_unused:UNUSED_PAD src0_sel:DWORD src1_sel:WORD_1
	v_fma_f16 v124, v124, -0.5, v236
	v_sub_f16_e32 v125, v105, v113
	v_mul_f16_sdwa v116, v115, v99 dst_sel:DWORD dst_unused:UNUSED_PAD src0_sel:DWORD src1_sel:WORD_1
	v_fma_f16 v115, v115, v99, v117
	v_lshrrev_b32_e32 v117, 16, v242
	v_mul_f16_sdwa v118, v242, v98 dst_sel:DWORD dst_unused:UNUSED_PAD src0_sel:DWORD src1_sel:WORD_1
	v_fma_f16 v126, v125, s0, v124
	v_fma_f16 v124, v125, s1, v124
	v_lshrrev_b32_e32 v125, 16, v236
	v_fma_f16 v118, v117, v98, v118
	v_mul_f16_sdwa v117, v117, v98 dst_sel:DWORD dst_unused:UNUSED_PAD src0_sel:DWORD src1_sel:WORD_1
	v_add_f16_e32 v127, v125, v105
	v_add_f16_e32 v105, v105, v113
	v_fma_f16 v116, v241, v99, -v116
	v_fma_f16 v117, v242, v98, -v117
	v_add_f16_e32 v127, v127, v113
	v_fma_f16 v105, v105, -0.5, v125
	v_add_f16_e32 v113, v236, v109
	v_sub_f16_e32 v109, v109, v111
	v_add_f16_e32 v113, v113, v111
	v_fma_f16 v111, v109, s1, v105
	v_fma_f16 v105, v109, s0, v105
	v_add_f16_e32 v109, v117, v116
	v_fma_f16 v109, v109, -0.5, v237
	v_lshrrev_b32_e32 v125, 16, v237
	v_sub_f16_e32 v236, v118, v115
	v_fma_f16 v238, v236, s0, v109
	v_fma_f16 v109, v236, s1, v109
	v_add_f16_e32 v236, v125, v118
	v_add_f16_e32 v128, v237, v117
	;; [unrolled: 1-line block ×4, first 2 shown]
	v_fma_f16 v121, v243, v94, -v121
	v_fma_f16 v123, v253, v95, -v123
	v_fma_f16 v115, v115, -0.5, v125
	v_add_f16_e32 v118, v128, v116
	v_sub_f16_e32 v116, v117, v116
	v_fma_f16 v117, v116, s1, v115
	v_fma_f16 v115, v116, s0, v115
	v_add_f16_e32 v116, v121, v123
	v_fma_f16 v116, v116, -0.5, v104
	v_lshrrev_b32_e32 v125, 16, v104
	v_sub_f16_e32 v128, v120, v122
	v_add_f16_e32 v104, v104, v121
	v_fma_f16 v240, v128, s0, v116
	v_fma_f16 v116, v128, s1, v116
	v_add_f16_e32 v128, v125, v120
	v_add_f16_e32 v120, v120, v122
	v_lshlrev_b32_e32 v236, 2, v250
	v_pack_b32_f16 v105, v124, v105
	v_add_f16_e32 v128, v128, v122
	v_fma_f16 v120, v120, -0.5, v125
	v_add_f16_e32 v104, v104, v123
	v_sub_f16_e32 v121, v121, v123
	v_pack_b32_f16 v113, v113, v127
	ds_write_b32 v236, v105 offset:23328
	v_pack_b32_f16 v105, v118, v237
	v_lshlrev_b32_e32 v237, 2, v251
	v_fma_f16 v122, v121, s1, v120
	ds_write_b32 v236, v113 offset:17496
	ds_write_b32 v237, v105 offset:17496
	v_pack_b32_f16 v105, v238, v117
	v_pack_b32_f16 v104, v104, v128
	v_lshlrev_b32_e32 v238, 2, v252
	v_fma_f16 v120, v121, s0, v120
	v_pack_b32_f16 v111, v126, v111
	ds_write_b32 v238, v104 offset:17496
	v_pack_b32_f16 v104, v240, v122
	ds_write_b32 v236, v111 offset:20412
	ds_write_b32 v237, v105 offset:20412
	v_pack_b32_f16 v105, v109, v115
	ds_write_b32 v238, v104 offset:20412
	v_pack_b32_f16 v104, v116, v120
	ds_write_b32 v237, v105 offset:23328
	ds_write_b32 v238, v104 offset:23328
	v_add_co_u32_e32 v104, vcc, s2, v106
	v_addc_co_u32_e32 v105, vcc, 0, v239, vcc
	v_add_co_u32_e32 v104, vcc, s6, v104
	v_addc_co_u32_e32 v105, vcc, 0, v105, vcc
	;; [unrolled: 2-line block ×4, first 2 shown]
	s_waitcnt lgkmcnt(0)
	s_barrier
	global_load_dwordx2 v[106:107], v[104:105], off offset:544
	s_nop 0
	global_load_dwordx2 v[104:105], v[115:116], off offset:544
	ds_read2_b32 v[115:116], v167 offset0:6 offset1:249
	ds_read2_b32 v[122:123], v170 offset0:8 offset1:251
	;; [unrolled: 1-line block ×3, first 2 shown]
	v_add_co_u32_e32 v108, vcc, s2, v108
	s_waitcnt lgkmcnt(2)
	v_lshrrev_b32_e32 v109, 16, v115
	v_lshrrev_b32_e32 v113, 16, v116
	s_waitcnt vmcnt(1)
	v_mul_f16_sdwa v111, v115, v107 dst_sel:DWORD dst_unused:UNUSED_PAD src0_sel:DWORD src1_sel:WORD_1
	v_fma_f16 v111, v109, v107, v111
	v_mul_f16_sdwa v109, v109, v107 dst_sel:DWORD dst_unused:UNUSED_PAD src0_sel:DWORD src1_sel:WORD_1
	v_fma_f16 v109, v115, v107, -v109
	s_waitcnt vmcnt(0)
	v_mul_f16_sdwa v115, v113, v105 dst_sel:DWORD dst_unused:UNUSED_PAD src0_sel:DWORD src1_sel:WORD_1
	v_fma_f16 v248, v116, v105, -v115
	v_mul_f16_sdwa v115, v116, v105 dst_sel:DWORD dst_unused:UNUSED_PAD src0_sel:DWORD src1_sel:WORD_1
	v_fma_f16 v113, v113, v105, v115
	s_waitcnt lgkmcnt(1)
	v_lshrrev_b32_e32 v115, 16, v123
	v_mul_f16_sdwa v116, v123, v106 dst_sel:DWORD dst_unused:UNUSED_PAD src0_sel:DWORD src1_sel:WORD_1
	v_fma_f16 v117, v115, v106, v116
	v_mul_f16_sdwa v115, v115, v106 dst_sel:DWORD dst_unused:UNUSED_PAD src0_sel:DWORD src1_sel:WORD_1
	v_fma_f16 v118, v123, v106, -v115
	ds_read2_b32 v[115:116], v129 offset1:243
	v_add_f16_e32 v120, v118, v109
	v_sub_f16_e32 v121, v117, v111
	s_waitcnt lgkmcnt(0)
	v_fma_f16 v120, v120, -0.5, v115
	v_fma_f16 v123, v121, s0, v120
	v_fma_f16 v120, v121, s1, v120
	v_lshrrev_b32_e32 v121, 16, v115
	v_add_f16_e32 v124, v121, v117
	v_add_f16_e32 v124, v124, v111
	;; [unrolled: 1-line block ×4, first 2 shown]
	v_fma_f16 v111, v111, -0.5, v121
	v_add_f16_e32 v115, v115, v109
	v_sub_f16_e32 v109, v118, v109
	v_fma_f16 v117, v109, s1, v111
	v_fma_f16 v109, v109, s0, v111
	v_lshrrev_b32_e32 v111, 16, v240
	v_mul_f16_sdwa v118, v240, v104 dst_sel:DWORD dst_unused:UNUSED_PAD src0_sel:DWORD src1_sel:WORD_1
	v_fma_f16 v249, v111, v104, v118
	v_mul_f16_sdwa v111, v111, v104 dst_sel:DWORD dst_unused:UNUSED_PAD src0_sel:DWORD src1_sel:WORD_1
	v_fma_f16 v111, v240, v104, -v111
	v_add_f16_e32 v118, v111, v248
	v_lshrrev_b32_e32 v251, 16, v116
	v_pack_b32_f16 v252, v115, v124
	v_pack_b32_f16 v115, v123, v117
	v_fma_f16 v250, v118, -0.5, v116
	v_add_f16_e32 v116, v116, v111
	ds_write_b32 v129, v115 offset:8748
	v_pack_b32_f16 v109, v120, v109
	v_add_f16_e32 v115, v251, v249
	ds_write_b32 v129, v109 offset:17496
	v_add_f16_e32 v109, v116, v248
	v_add_f16_e32 v115, v115, v113
	v_pack_b32_f16 v109, v109, v115
	ds_read_b32 v240, v129 offset:25272
	ds_read2_b32 v[242:243], v163 offset0:6 offset1:249
	ds_read2_b32 v[244:245], v164 offset0:12 offset1:255
	;; [unrolled: 1-line block ×8, first 2 shown]
	ds_read2_b32 v[123:124], v136 offset1:243
	ds_write2_b32 v129, v252, v109 offset1:243
	v_addc_co_u32_e32 v109, vcc, 0, v239, vcc
	v_add_co_u32_e32 v108, vcc, s6, v108
	v_addc_co_u32_e32 v109, vcc, 0, v109, vcc
	global_load_dwordx2 v[108:109], v[108:109], off offset:544
	v_lshrrev_b32_e32 v252, 16, v241
	v_sub_f16_e32 v111, v111, v248
	s_waitcnt lgkmcnt(9)
	v_lshrrev_b32_e32 v254, 16, v242
	s_waitcnt vmcnt(0)
	v_mul_f16_sdwa v253, v252, v108 dst_sel:DWORD dst_unused:UNUSED_PAD src0_sel:DWORD src1_sel:WORD_1
	v_fma_f16 v253, v241, v108, -v253
	v_mul_f16_sdwa v241, v241, v108 dst_sel:DWORD dst_unused:UNUSED_PAD src0_sel:DWORD src1_sel:WORD_1
	v_fma_f16 v241, v252, v108, v241
	v_sub_f16_e32 v252, v249, v113
	v_add_f16_e32 v113, v249, v113
	v_fma_f16 v113, v113, -0.5, v251
	v_fma_f16 v248, v252, s0, v250
	v_fma_f16 v249, v111, s1, v113
	v_pack_b32_f16 v248, v248, v249
	s_waitcnt lgkmcnt(8)
	v_lshrrev_b32_e32 v249, 16, v244
	v_mul_f16_sdwa v251, v244, v109 dst_sel:DWORD dst_unused:UNUSED_PAD src0_sel:DWORD src1_sel:WORD_1
	v_fma_f16 v251, v249, v109, v251
	v_mul_f16_sdwa v249, v249, v109 dst_sel:DWORD dst_unused:UNUSED_PAD src0_sel:DWORD src1_sel:WORD_1
	v_fma_f16 v244, v244, v109, -v249
	v_add_f16_e32 v249, v253, v244
	v_add_f16_e32 v255, v241, v251
	v_fma_f16 v249, v249, -0.5, v242
	v_fma_f16 v255, v255, -0.5, v254
	v_sub_f16_e32 v1, v241, v251
	v_sub_f16_e32 v171, v253, v244
	v_fma_f16 v168, v1, s0, v249
	v_fma_f16 v172, v171, s1, v255
	v_pack_b32_f16 v168, v168, v172
	ds_write2_b32 v166, v248, v168 offset0:6 offset1:249
	v_fma_f16 v168, v252, s1, v250
	v_fma_f16 v111, v111, s0, v113
	v_fma_f16 v1, v1, s1, v249
	v_fma_f16 v113, v171, s0, v255
	v_pack_b32_f16 v111, v168, v111
	v_pack_b32_f16 v1, v1, v113
	v_add_u32_e32 v252, 0x4800, v129
	ds_write2_b32 v252, v111, v1 offset0:9 offset1:252
	v_lshlrev_b32_e32 v1, 3, v110
	v_add_co_u32_e32 v1, vcc, s2, v1
	v_addc_co_u32_e32 v111, vcc, 0, v239, vcc
	v_add_co_u32_e32 v110, vcc, s6, v1
	v_addc_co_u32_e32 v111, vcc, 0, v111, vcc
	global_load_dwordx2 v[110:111], v[110:111], off offset:544
	v_lshrrev_b32_e32 v1, 16, v245
	v_add_f16_e32 v171, v254, v241
	s_waitcnt lgkmcnt(9)
	v_lshrrev_b32_e32 v172, 16, v246
	v_add_f16_e32 v171, v171, v251
	v_add_co_u32_e32 v112, vcc, s2, v112
	v_add_u32_e32 v254, 0x5ec0, v129
	s_waitcnt vmcnt(0)
	v_mul_f16_sdwa v241, v246, v110 dst_sel:DWORD dst_unused:UNUSED_PAD src0_sel:DWORD src1_sel:WORD_1
	v_mul_f16_sdwa v113, v1, v111 dst_sel:DWORD dst_unused:UNUSED_PAD src0_sel:DWORD src1_sel:WORD_1
	v_fma_f16 v241, v172, v110, v241
	v_mul_f16_sdwa v172, v172, v110 dst_sel:DWORD dst_unused:UNUSED_PAD src0_sel:DWORD src1_sel:WORD_1
	v_fma_f16 v168, v245, v111, -v113
	v_mul_f16_sdwa v113, v245, v111 dst_sel:DWORD dst_unused:UNUSED_PAD src0_sel:DWORD src1_sel:WORD_1
	v_fma_f16 v172, v246, v110, -v172
	v_fma_f16 v1, v1, v111, v113
	v_add_f16_e32 v113, v242, v253
	v_add_f16_e32 v242, v172, v168
	;; [unrolled: 1-line block ×3, first 2 shown]
	v_fma_f16 v242, v242, -0.5, v243
	v_lshrrev_b32_e32 v244, 16, v243
	v_add_f16_e32 v243, v243, v172
	v_pack_b32_f16 v113, v113, v171
	v_add_f16_e32 v171, v243, v168
	v_add_f16_e32 v243, v244, v241
	v_add_f16_e32 v243, v243, v1
	v_pack_b32_f16 v171, v171, v243
	ds_write2_b32 v163, v113, v171 offset0:6 offset1:249
	v_addc_co_u32_e32 v113, vcc, 0, v239, vcc
	v_add_co_u32_e32 v112, vcc, s6, v112
	v_addc_co_u32_e32 v113, vcc, 0, v113, vcc
	global_load_dwordx2 v[112:113], v[112:113], off offset:544
	v_lshrrev_b32_e32 v171, 16, v247
	v_sub_f16_e32 v168, v172, v168
	s_waitcnt lgkmcnt(9)
	v_lshrrev_b32_e32 v246, 16, v127
	v_add_u32_e32 v253, 0x5740, v129
	s_waitcnt vmcnt(0)
	v_mul_f16_sdwa v245, v247, v112 dst_sel:DWORD dst_unused:UNUSED_PAD src0_sel:DWORD src1_sel:WORD_1
	v_mul_f16_sdwa v243, v171, v112 dst_sel:DWORD dst_unused:UNUSED_PAD src0_sel:DWORD src1_sel:WORD_1
	v_fma_f16 v171, v171, v112, v245
	v_sub_f16_e32 v245, v241, v1
	v_add_f16_e32 v1, v241, v1
	v_fma_f16 v1, v1, -0.5, v244
	v_fma_f16 v172, v245, s0, v242
	v_fma_f16 v241, v168, s1, v1
	v_pack_b32_f16 v172, v172, v241
	s_waitcnt lgkmcnt(8)
	v_lshrrev_b32_e32 v241, 16, v115
	v_mul_f16_sdwa v244, v115, v113 dst_sel:DWORD dst_unused:UNUSED_PAD src0_sel:DWORD src1_sel:WORD_1
	v_fma_f16 v244, v241, v113, v244
	v_mul_f16_sdwa v241, v241, v113 dst_sel:DWORD dst_unused:UNUSED_PAD src0_sel:DWORD src1_sel:WORD_1
	v_fma_f16 v243, v247, v112, -v243
	v_fma_f16 v241, v115, v113, -v241
	v_add_f16_e32 v115, v243, v241
	v_add_f16_e32 v247, v171, v244
	v_fma_f16 v115, v115, -0.5, v127
	v_fma_f16 v247, v247, -0.5, v246
	v_sub_f16_e32 v248, v171, v244
	v_sub_f16_e32 v250, v243, v241
	v_fma_f16 v249, v248, s0, v115
	v_fma_f16 v251, v250, s1, v247
	v_pack_b32_f16 v249, v249, v251
	ds_write2_b32 v157, v172, v249 offset0:4 offset1:247
	v_fma_f16 v172, v245, s1, v242
	v_fma_f16 v1, v168, s0, v1
	;; [unrolled: 1-line block ×4, first 2 shown]
	v_pack_b32_f16 v1, v172, v1
	v_pack_b32_f16 v115, v115, v168
	v_add_u32_e32 v248, 0x4fa0, v129
	ds_write2_b32 v248, v1, v115 offset0:7 offset1:250
	v_lshlrev_b32_e32 v1, 3, v114
	v_add_co_u32_e32 v1, vcc, s2, v1
	v_addc_co_u32_e32 v115, vcc, 0, v239, vcc
	v_add_co_u32_e32 v114, vcc, s6, v1
	v_addc_co_u32_e32 v115, vcc, 0, v115, vcc
	global_load_dwordx2 v[114:115], v[114:115], off offset:544
	v_lshrrev_b32_e32 v1, 16, v116
	v_lshrrev_b32_e32 v242, 16, v128
	v_mov_b32_e32 v251, v252
	s_waitcnt vmcnt(0)
	v_mul_f16_sdwa v168, v1, v115 dst_sel:DWORD dst_unused:UNUSED_PAD src0_sel:DWORD src1_sel:WORD_1
	v_fma_f16 v168, v116, v115, -v168
	v_mul_f16_sdwa v116, v116, v115 dst_sel:DWORD dst_unused:UNUSED_PAD src0_sel:DWORD src1_sel:WORD_1
	v_fma_f16 v1, v1, v115, v116
	v_add_f16_e32 v116, v127, v243
	v_add_f16_e32 v127, v246, v171
	s_waitcnt lgkmcnt(9)
	v_lshrrev_b32_e32 v171, 16, v117
	v_mul_f16_sdwa v172, v117, v114 dst_sel:DWORD dst_unused:UNUSED_PAD src0_sel:DWORD src1_sel:WORD_1
	v_fma_f16 v172, v171, v114, v172
	v_mul_f16_sdwa v171, v171, v114 dst_sel:DWORD dst_unused:UNUSED_PAD src0_sel:DWORD src1_sel:WORD_1
	v_fma_f16 v171, v117, v114, -v171
	v_add_f16_e32 v116, v116, v241
	v_add_f16_e32 v127, v127, v244
	;; [unrolled: 1-line block ×3, first 2 shown]
	v_fma_f16 v241, v117, -0.5, v128
	v_add_f16_e32 v117, v128, v171
	v_pack_b32_f16 v116, v116, v127
	v_add_f16_e32 v127, v242, v172
	v_add_f16_e32 v117, v117, v168
	;; [unrolled: 1-line block ×3, first 2 shown]
	v_pack_b32_f16 v117, v117, v127
	ds_write2_b32 v154, v116, v117 offset0:12 offset1:255
	v_lshlrev_b32_e32 v116, 3, v235
	v_add_co_u32_e32 v116, vcc, s2, v116
	v_addc_co_u32_e32 v117, vcc, 0, v239, vcc
	v_add_co_u32_e32 v116, vcc, s6, v116
	v_addc_co_u32_e32 v117, vcc, 0, v117, vcc
	global_load_dwordx2 v[116:117], v[116:117], off offset:544
	v_lshrrev_b32_e32 v127, 16, v118
	v_sub_f16_e32 v168, v171, v168
	s_waitcnt vmcnt(0)
	v_mul_f16_sdwa v128, v127, v116 dst_sel:DWORD dst_unused:UNUSED_PAD src0_sel:DWORD src1_sel:WORD_1
	v_fma_f16 v128, v118, v116, -v128
	v_mul_f16_sdwa v118, v118, v116 dst_sel:DWORD dst_unused:UNUSED_PAD src0_sel:DWORD src1_sel:WORD_1
	v_fma_f16 v127, v127, v116, v118
	v_sub_f16_e32 v118, v172, v1
	v_add_f16_e32 v1, v172, v1
	v_fma_f16 v1, v1, -0.5, v242
	v_fma_f16 v171, v118, s0, v241
	v_fma_f16 v172, v168, s1, v1
	v_pack_b32_f16 v171, v171, v172
	s_waitcnt lgkmcnt(8)
	v_lshrrev_b32_e32 v172, 16, v125
	v_mul_f16_sdwa v235, v125, v117 dst_sel:DWORD dst_unused:UNUSED_PAD src0_sel:DWORD src1_sel:WORD_1
	v_fma_f16 v235, v172, v117, v235
	v_mul_f16_sdwa v172, v172, v117 dst_sel:DWORD dst_unused:UNUSED_PAD src0_sel:DWORD src1_sel:WORD_1
	v_fma_f16 v125, v125, v117, -v172
	v_add_f16_e32 v172, v128, v125
	v_lshrrev_b32_e32 v242, 16, v120
	v_add_f16_e32 v243, v127, v235
	v_fma_f16 v172, v172, -0.5, v120
	v_fma_f16 v243, v243, -0.5, v242
	v_sub_f16_e32 v244, v127, v235
	v_sub_f16_e32 v246, v128, v125
	v_fma_f16 v245, v244, s0, v172
	v_fma_f16 v247, v246, s1, v243
	v_pack_b32_f16 v245, v245, v247
	ds_write2_b32 v147, v171, v245 offset0:10 offset1:253
	v_fma_f16 v118, v118, s1, v241
	v_fma_f16 v1, v168, s0, v1
	;; [unrolled: 1-line block ×4, first 2 shown]
	v_pack_b32_f16 v1, v118, v1
	v_pack_b32_f16 v118, v168, v171
	ds_write2_b32 v253, v1, v118 offset0:5 offset1:248
	v_lshlrev_b32_e32 v1, 3, v119
	v_add_co_u32_e32 v1, vcc, s2, v1
	v_addc_co_u32_e32 v119, vcc, 0, v239, vcc
	v_add_co_u32_e32 v118, vcc, s6, v1
	v_addc_co_u32_e32 v119, vcc, 0, v119, vcc
	global_load_dwordx2 v[118:119], v[118:119], off offset:544
	v_lshrrev_b32_e32 v1, 16, v126
	v_add_f16_e32 v120, v120, v128
	v_add_f16_e32 v120, v120, v125
	v_add_f16_e32 v125, v242, v127
	v_add_f16_e32 v125, v125, v235
	v_lshrrev_b32_e32 v128, 16, v121
	v_pack_b32_f16 v120, v120, v125
	s_waitcnt vmcnt(0)
	v_mul_f16_sdwa v168, v1, v119 dst_sel:DWORD dst_unused:UNUSED_PAD src0_sel:DWORD src1_sel:WORD_1
	v_fma_f16 v168, v126, v119, -v168
	v_mul_f16_sdwa v126, v126, v119 dst_sel:DWORD dst_unused:UNUSED_PAD src0_sel:DWORD src1_sel:WORD_1
	v_fma_f16 v1, v1, v119, v126
	s_waitcnt lgkmcnt(9)
	v_lshrrev_b32_e32 v126, 16, v123
	v_mul_f16_sdwa v127, v123, v118 dst_sel:DWORD dst_unused:UNUSED_PAD src0_sel:DWORD src1_sel:WORD_1
	v_fma_f16 v127, v126, v118, v127
	v_mul_f16_sdwa v126, v126, v118 dst_sel:DWORD dst_unused:UNUSED_PAD src0_sel:DWORD src1_sel:WORD_1
	v_fma_f16 v123, v123, v118, -v126
	v_add_f16_e32 v126, v123, v168
	v_fma_f16 v126, v126, -0.5, v121
	v_add_f16_e32 v121, v121, v123
	v_add_f16_e32 v125, v128, v127
	;; [unrolled: 1-line block ×4, first 2 shown]
	v_pack_b32_f16 v121, v121, v125
	ds_write2_b32 v142, v120, v121 offset0:2 offset1:245
	v_lshlrev_b32_e32 v120, 3, v234
	v_add_co_u32_e32 v120, vcc, s2, v120
	v_addc_co_u32_e32 v121, vcc, 0, v239, vcc
	v_add_co_u32_e32 v120, vcc, s6, v120
	v_addc_co_u32_e32 v121, vcc, 0, v121, vcc
	global_load_dwordx2 v[120:121], v[120:121], off offset:544
	v_lshrrev_b32_e32 v125, 16, v124
	v_sub_f16_e32 v123, v123, v168
	s_mov_b32 s6, 0x8000
	s_movk_i32 s2, 0x6684
	s_waitcnt vmcnt(0)
	v_mul_f16_sdwa v171, v125, v120 dst_sel:DWORD dst_unused:UNUSED_PAD src0_sel:DWORD src1_sel:WORD_1
	v_fma_f16 v171, v124, v120, -v171
	v_mul_f16_sdwa v124, v124, v120 dst_sel:DWORD dst_unused:UNUSED_PAD src0_sel:DWORD src1_sel:WORD_1
	v_fma_f16 v124, v125, v120, v124
	v_lshrrev_b32_e32 v125, 16, v240
	v_mul_f16_sdwa v234, v240, v121 dst_sel:DWORD dst_unused:UNUSED_PAD src0_sel:DWORD src1_sel:WORD_1
	v_mul_f16_sdwa v172, v125, v121 dst_sel:DWORD dst_unused:UNUSED_PAD src0_sel:DWORD src1_sel:WORD_1
	v_fma_f16 v125, v125, v121, v234
	v_sub_f16_e32 v234, v127, v1
	v_add_f16_e32 v1, v127, v1
	v_fma_f16 v1, v1, -0.5, v128
	v_fma_f16 v172, v240, v121, -v172
	v_fma_f16 v168, v234, s0, v126
	v_fma_f16 v235, v123, s1, v1
	v_add_f16_e32 v127, v171, v172
	v_lshrrev_b32_e32 v128, 16, v122
	v_pack_b32_f16 v168, v168, v235
	v_add_f16_e32 v235, v124, v125
	v_fma_f16 v127, v127, -0.5, v122
	v_add_f16_e32 v122, v122, v171
	v_fma_f16 v235, v235, -0.5, v128
	v_sub_f16_e32 v171, v171, v172
	v_sub_f16_e32 v239, v124, v125
	v_fma_f16 v240, v239, s0, v127
	v_fma_f16 v126, v234, s1, v126
	v_fma_f16 v1, v123, s0, v1
	v_fma_f16 v123, v239, s1, v127
	v_fma_f16 v127, v171, s0, v235
	v_pack_b32_f16 v1, v126, v1
	v_pack_b32_f16 v123, v123, v127
	ds_write2_b32 v254, v1, v123 offset0:11 offset1:254
	v_add_f16_e32 v1, v122, v172
	v_add_f16_e32 v122, v128, v124
	v_fma_f16 v241, v171, s1, v235
	v_add_f16_e32 v122, v122, v125
	v_pack_b32_f16 v240, v240, v241
	v_pack_b32_f16 v1, v1, v122
	ds_write2_b32 v136, v168, v240 offset1:243
	ds_write_b32 v129, v1 offset:7776
	s_waitcnt lgkmcnt(0)
	s_barrier
	global_load_dword v1, v[66:67], off offset:1668
	ds_read2_b32 v[66:67], v129 offset1:243
	s_waitcnt lgkmcnt(0)
	v_lshrrev_b32_e32 v122, 16, v66
	s_waitcnt vmcnt(0)
	v_mul_f16_sdwa v123, v66, v1 dst_sel:DWORD dst_unused:UNUSED_PAD src0_sel:DWORD src1_sel:WORD_1
	v_fma_f16 v123, v122, v1, v123
	v_mul_f16_sdwa v122, v122, v1 dst_sel:DWORD dst_unused:UNUSED_PAD src0_sel:DWORD src1_sel:WORD_1
	v_fma_f16 v1, v66, v1, -v122
	v_add_co_u32_e32 v122, vcc, s6, v173
	v_pack_b32_f16 v1, v1, v123
	v_addc_co_u32_e32 v123, vcc, 0, v174, vcc
	ds_write_b32 v129, v1
	global_load_dword v1, v[122:123], off offset:2224
	ds_read2_b32 v[124:125], v170 offset0:8 offset1:251
	s_waitcnt lgkmcnt(0)
	v_lshrrev_b32_e32 v66, 16, v125
	s_waitcnt vmcnt(0)
	v_mul_f16_sdwa v126, v125, v1 dst_sel:DWORD dst_unused:UNUSED_PAD src0_sel:DWORD src1_sel:WORD_1
	v_fma_f16 v126, v66, v1, v126
	v_mul_f16_sdwa v66, v66, v1 dst_sel:DWORD dst_unused:UNUSED_PAD src0_sel:DWORD src1_sel:WORD_1
	v_fma_f16 v1, v125, v1, -v66
	global_load_dword v66, v[122:123], off offset:3196
	v_pack_b32_f16 v1, v1, v126
	ds_read2_b32 v[125:126], v166 offset0:6 offset1:249
	s_waitcnt lgkmcnt(0)
	v_lshrrev_b32_e32 v127, 16, v125
	s_waitcnt vmcnt(0)
	v_mul_f16_sdwa v128, v125, v66 dst_sel:DWORD dst_unused:UNUSED_PAD src0_sel:DWORD src1_sel:WORD_1
	v_fma_f16 v128, v127, v66, v128
	v_mul_f16_sdwa v127, v127, v66 dst_sel:DWORD dst_unused:UNUSED_PAD src0_sel:DWORD src1_sel:WORD_1
	v_fma_f16 v66, v125, v66, -v127
	v_add_co_u32_e32 v127, vcc, s2, v173
	v_pack_b32_f16 v66, v66, v128
	v_add_u32_e32 v125, 0x2200, v129
	v_addc_co_u32_e32 v128, vcc, 0, v174, vcc
	ds_write2_b32 v125, v1, v66 offset0:11 offset1:254
	global_load_dword v1, v[127:128], off offset:972
	v_lshrrev_b32_e32 v66, 16, v67
	s_mov_b32 s2, 0x9000
	v_add_co_u32_e32 v234, vcc, s2, v173
	v_addc_co_u32_e32 v235, vcc, 0, v174, vcc
	s_movk_i32 s2, 0x7000
	s_waitcnt vmcnt(0)
	v_mul_f16_sdwa v125, v66, v1 dst_sel:DWORD dst_unused:UNUSED_PAD src0_sel:DWORD src1_sel:WORD_1
	v_fma_f16 v125, v67, v1, -v125
	v_mul_f16_sdwa v67, v67, v1 dst_sel:DWORD dst_unused:UNUSED_PAD src0_sel:DWORD src1_sel:WORD_1
	v_fma_f16 v1, v66, v1, v67
	v_pack_b32_f16 v1, v125, v1
	global_load_dword v125, v[127:128], off offset:1944
	ds_read2_b32 v[66:67], v163 offset0:6 offset1:249
	s_waitcnt lgkmcnt(0)
	v_lshrrev_b32_e32 v168, 16, v66
	s_waitcnt vmcnt(0)
	v_mul_f16_sdwa v171, v66, v125 dst_sel:DWORD dst_unused:UNUSED_PAD src0_sel:DWORD src1_sel:WORD_1
	v_fma_f16 v171, v168, v125, v171
	v_mul_f16_sdwa v168, v168, v125 dst_sel:DWORD dst_unused:UNUSED_PAD src0_sel:DWORD src1_sel:WORD_1
	v_fma_f16 v66, v66, v125, -v168
	v_pack_b32_f16 v66, v66, v171
	v_add_u32_e32 v125, 0x3c0, v129
	ds_write2_b32 v125, v1, v66 offset0:3 offset1:246
	global_load_dword v1, v[234:235], off offset:72
	v_lshrrev_b32_e32 v66, 16, v126
	s_waitcnt vmcnt(0)
	v_mul_f16_sdwa v125, v66, v1 dst_sel:DWORD dst_unused:UNUSED_PAD src0_sel:DWORD src1_sel:WORD_1
	v_fma_f16 v125, v126, v1, -v125
	v_mul_f16_sdwa v126, v126, v1 dst_sel:DWORD dst_unused:UNUSED_PAD src0_sel:DWORD src1_sel:WORD_1
	v_fma_f16 v1, v66, v1, v126
	global_load_dword v66, v[234:235], off offset:1044
	v_pack_b32_f16 v1, v125, v1
	ds_read2_b32 v[125:126], v157 offset0:4 offset1:247
	s_waitcnt lgkmcnt(0)
	v_lshrrev_b32_e32 v168, 16, v125
	s_waitcnt vmcnt(0)
	v_mul_f16_sdwa v171, v125, v66 dst_sel:DWORD dst_unused:UNUSED_PAD src0_sel:DWORD src1_sel:WORD_1
	v_fma_f16 v171, v168, v66, v171
	v_mul_f16_sdwa v168, v168, v66 dst_sel:DWORD dst_unused:UNUSED_PAD src0_sel:DWORD src1_sel:WORD_1
	v_fma_f16 v66, v125, v66, -v168
	v_pack_b32_f16 v66, v66, v171
	v_add_u32_e32 v125, 0x29c0, v129
	ds_write2_b32 v125, v1, v66 offset0:1 offset1:244
	global_load_dword v1, v[127:128], off offset:2916
	v_lshrrev_b32_e32 v66, 16, v67
	global_load_dword v127, v[127:128], off offset:3888
	s_waitcnt vmcnt(1)
	v_mul_f16_sdwa v125, v66, v1 dst_sel:DWORD dst_unused:UNUSED_PAD src0_sel:DWORD src1_sel:WORD_1
	v_fma_f16 v125, v67, v1, -v125
	v_mul_f16_sdwa v67, v67, v1 dst_sel:DWORD dst_unused:UNUSED_PAD src0_sel:DWORD src1_sel:WORD_1
	v_fma_f16 v1, v66, v1, v67
	ds_read2_b32 v[66:67], v154 offset0:12 offset1:255
	v_pack_b32_f16 v1, v125, v1
	s_waitcnt lgkmcnt(0)
	v_lshrrev_b32_e32 v125, 16, v66
	s_waitcnt vmcnt(0)
	v_mul_f16_sdwa v128, v66, v127 dst_sel:DWORD dst_unused:UNUSED_PAD src0_sel:DWORD src1_sel:WORD_1
	v_fma_f16 v128, v125, v127, v128
	v_mul_f16_sdwa v125, v125, v127 dst_sel:DWORD dst_unused:UNUSED_PAD src0_sel:DWORD src1_sel:WORD_1
	v_fma_f16 v66, v66, v127, -v125
	v_pack_b32_f16 v66, v66, v128
	v_add_u32_e32 v125, 0xb40, v129
	ds_write2_b32 v125, v1, v66 offset0:9 offset1:252
	global_load_dword v1, v[234:235], off offset:2016
	v_lshrrev_b32_e32 v66, 16, v126
	s_waitcnt vmcnt(0)
	v_mul_f16_sdwa v125, v66, v1 dst_sel:DWORD dst_unused:UNUSED_PAD src0_sel:DWORD src1_sel:WORD_1
	v_fma_f16 v125, v126, v1, -v125
	v_mul_f16_sdwa v126, v126, v1 dst_sel:DWORD dst_unused:UNUSED_PAD src0_sel:DWORD src1_sel:WORD_1
	v_fma_f16 v1, v66, v1, v126
	global_load_dword v66, v[234:235], off offset:2988
	v_pack_b32_f16 v1, v125, v1
	ds_read2_b32 v[125:126], v147 offset0:10 offset1:253
	s_waitcnt lgkmcnt(0)
	v_lshrrev_b32_e32 v127, 16, v125
	s_waitcnt vmcnt(0)
	v_mul_f16_sdwa v128, v125, v66 dst_sel:DWORD dst_unused:UNUSED_PAD src0_sel:DWORD src1_sel:WORD_1
	v_fma_f16 v128, v127, v66, v128
	v_mul_f16_sdwa v127, v127, v66 dst_sel:DWORD dst_unused:UNUSED_PAD src0_sel:DWORD src1_sel:WORD_1
	v_fma_f16 v66, v125, v66, -v127
	v_add_co_u32_e32 v127, vcc, s2, v173
	v_pack_b32_f16 v66, v66, v128
	v_add_u32_e32 v125, 0x3140, v129
	v_addc_co_u32_e32 v128, vcc, 0, v174, vcc
	ds_write2_b32 v125, v1, v66 offset0:7 offset1:250
	global_load_dword v1, v[127:128], off offset:2432
	v_lshrrev_b32_e32 v66, 16, v67
	global_load_dword v127, v[127:128], off offset:3404
	s_mov_b32 s2, 0xa000
	s_waitcnt vmcnt(1)
	v_mul_f16_sdwa v125, v66, v1 dst_sel:DWORD dst_unused:UNUSED_PAD src0_sel:DWORD src1_sel:WORD_1
	v_fma_f16 v125, v67, v1, -v125
	v_mul_f16_sdwa v67, v67, v1 dst_sel:DWORD dst_unused:UNUSED_PAD src0_sel:DWORD src1_sel:WORD_1
	v_fma_f16 v1, v66, v1, v67
	ds_read2_b32 v[66:67], v142 offset0:2 offset1:245
	v_pack_b32_f16 v1, v125, v1
	s_waitcnt lgkmcnt(0)
	v_lshrrev_b32_e32 v125, 16, v66
	s_waitcnt vmcnt(0)
	v_mul_f16_sdwa v128, v66, v127 dst_sel:DWORD dst_unused:UNUSED_PAD src0_sel:DWORD src1_sel:WORD_1
	v_fma_f16 v128, v125, v127, v128
	v_mul_f16_sdwa v125, v125, v127 dst_sel:DWORD dst_unused:UNUSED_PAD src0_sel:DWORD src1_sel:WORD_1
	v_fma_f16 v66, v66, v127, -v125
	v_pack_b32_f16 v66, v66, v128
	v_add_u32_e32 v125, 0x12e0, v129
	ds_write2_b32 v125, v1, v66 offset0:7 offset1:250
	global_load_dword v1, v[234:235], off offset:3960
	v_lshrrev_b32_e32 v66, 16, v126
	ds_read2_b32 v[127:128], v136 offset1:243
	s_waitcnt lgkmcnt(0)
	v_lshrrev_b32_e32 v168, 16, v127
	s_waitcnt vmcnt(0)
	v_mul_f16_sdwa v125, v66, v1 dst_sel:DWORD dst_unused:UNUSED_PAD src0_sel:DWORD src1_sel:WORD_1
	v_fma_f16 v125, v126, v1, -v125
	v_mul_f16_sdwa v126, v126, v1 dst_sel:DWORD dst_unused:UNUSED_PAD src0_sel:DWORD src1_sel:WORD_1
	v_fma_f16 v1, v66, v1, v126
	v_pack_b32_f16 v1, v125, v1
	v_add_co_u32_e32 v125, vcc, s2, v173
	v_addc_co_u32_e32 v126, vcc, 0, v174, vcc
	global_load_dword v66, v[125:126], off offset:836
	s_mov_b32 s2, 0xb000
	s_waitcnt vmcnt(0)
	v_mul_f16_sdwa v171, v127, v66 dst_sel:DWORD dst_unused:UNUSED_PAD src0_sel:DWORD src1_sel:WORD_1
	v_fma_f16 v171, v168, v66, v171
	v_mul_f16_sdwa v168, v168, v66 dst_sel:DWORD dst_unused:UNUSED_PAD src0_sel:DWORD src1_sel:WORD_1
	v_fma_f16 v66, v127, v66, -v168
	v_pack_b32_f16 v66, v66, v171
	v_add_u32_e32 v127, 0x38e0, v129
	ds_write2_b32 v127, v1, v66 offset0:5 offset1:248
	global_load_dword v1, v[122:123], off offset:280
	v_lshrrev_b32_e32 v66, 16, v67
	s_waitcnt vmcnt(0)
	v_mul_f16_sdwa v127, v66, v1 dst_sel:DWORD dst_unused:UNUSED_PAD src0_sel:DWORD src1_sel:WORD_1
	v_fma_f16 v127, v67, v1, -v127
	v_mul_f16_sdwa v67, v67, v1 dst_sel:DWORD dst_unused:UNUSED_PAD src0_sel:DWORD src1_sel:WORD_1
	v_fma_f16 v1, v66, v1, v67
	global_load_dword v66, v[122:123], off offset:1252
	v_lshrrev_b32_e32 v67, 16, v124
	v_pack_b32_f16 v1, v127, v1
	s_waitcnt vmcnt(0)
	v_mul_f16_sdwa v122, v67, v66 dst_sel:DWORD dst_unused:UNUSED_PAD src0_sel:DWORD src1_sel:WORD_1
	v_mul_f16_sdwa v123, v124, v66 dst_sel:DWORD dst_unused:UNUSED_PAD src0_sel:DWORD src1_sel:WORD_1
	v_fma_f16 v122, v124, v66, -v122
	v_fma_f16 v66, v67, v66, v123
	v_pack_b32_f16 v66, v122, v66
	v_add_u32_e32 v67, 0x1a80, v129
	ds_write2_b32 v67, v1, v66 offset0:5 offset1:248
	global_load_dword v1, v[125:126], off offset:1808
	global_load_dword v123, v[125:126], off offset:2780
	v_lshrrev_b32_e32 v66, 16, v128
	s_waitcnt vmcnt(1)
	v_mul_f16_sdwa v67, v66, v1 dst_sel:DWORD dst_unused:UNUSED_PAD src0_sel:DWORD src1_sel:WORD_1
	v_fma_f16 v122, v128, v1, -v67
	v_mul_f16_sdwa v67, v128, v1 dst_sel:DWORD dst_unused:UNUSED_PAD src0_sel:DWORD src1_sel:WORD_1
	v_fma_f16 v1, v66, v1, v67
	ds_read2_b32 v[66:67], v167 offset0:6 offset1:249
	v_pack_b32_f16 v1, v122, v1
	v_add_u32_e32 v122, 0x4080, v129
	s_waitcnt lgkmcnt(0)
	v_lshrrev_b32_e32 v124, 16, v66
	s_waitcnt vmcnt(0)
	v_mul_f16_sdwa v127, v66, v123 dst_sel:DWORD dst_unused:UNUSED_PAD src0_sel:DWORD src1_sel:WORD_1
	v_fma_f16 v127, v124, v123, v127
	v_mul_f16_sdwa v124, v124, v123 dst_sel:DWORD dst_unused:UNUSED_PAD src0_sel:DWORD src1_sel:WORD_1
	v_fma_f16 v66, v66, v123, -v124
	v_pack_b32_f16 v66, v66, v127
	ds_write2_b32 v122, v1, v66 offset0:3 offset1:246
	global_load_dword v1, v[125:126], off offset:3752
	v_lshrrev_b32_e32 v66, 16, v67
	s_waitcnt vmcnt(0)
	v_mul_f16_sdwa v122, v66, v1 dst_sel:DWORD dst_unused:UNUSED_PAD src0_sel:DWORD src1_sel:WORD_1
	v_fma_f16 v122, v67, v1, -v122
	v_mul_f16_sdwa v67, v67, v1 dst_sel:DWORD dst_unused:UNUSED_PAD src0_sel:DWORD src1_sel:WORD_1
	v_fma_f16 v1, v66, v1, v67
	v_add_co_u32_e32 v66, vcc, s2, v173
	v_addc_co_u32_e32 v67, vcc, 0, v174, vcc
	global_load_dword v124, v[66:67], off offset:628
	v_pack_b32_f16 v1, v122, v1
	ds_read2_b32 v[122:123], v164 offset0:12 offset1:255
	s_mov_b32 s2, 0xc000
	s_waitcnt lgkmcnt(0)
	v_lshrrev_b32_e32 v125, 16, v122
	s_waitcnt vmcnt(0)
	v_mul_f16_sdwa v126, v122, v124 dst_sel:DWORD dst_unused:UNUSED_PAD src0_sel:DWORD src1_sel:WORD_1
	v_fma_f16 v126, v125, v124, v126
	v_mul_f16_sdwa v125, v125, v124 dst_sel:DWORD dst_unused:UNUSED_PAD src0_sel:DWORD src1_sel:WORD_1
	v_fma_f16 v122, v122, v124, -v125
	v_pack_b32_f16 v122, v122, v126
	ds_write2_b32 v252, v1, v122 offset0:9 offset1:252
	global_load_dword v1, v[66:67], off offset:1600
	v_lshrrev_b32_e32 v122, 16, v123
	v_mov_b32_e32 v252, v248
	s_waitcnt vmcnt(0)
	v_mul_f16_sdwa v124, v122, v1 dst_sel:DWORD dst_unused:UNUSED_PAD src0_sel:DWORD src1_sel:WORD_1
	v_fma_f16 v124, v123, v1, -v124
	v_mul_f16_sdwa v123, v123, v1 dst_sel:DWORD dst_unused:UNUSED_PAD src0_sel:DWORD src1_sel:WORD_1
	v_fma_f16 v1, v122, v1, v123
	v_pack_b32_f16 v1, v124, v1
	global_load_dword v124, v[66:67], off offset:2572
	ds_read2_b32 v[122:123], v152 offset0:2 offset1:245
	s_waitcnt lgkmcnt(0)
	v_lshrrev_b32_e32 v125, 16, v122
	s_waitcnt vmcnt(0)
	v_mul_f16_sdwa v126, v122, v124 dst_sel:DWORD dst_unused:UNUSED_PAD src0_sel:DWORD src1_sel:WORD_1
	v_fma_f16 v126, v125, v124, v126
	v_mul_f16_sdwa v125, v125, v124 dst_sel:DWORD dst_unused:UNUSED_PAD src0_sel:DWORD src1_sel:WORD_1
	v_fma_f16 v122, v122, v124, -v125
	v_pack_b32_f16 v122, v122, v126
	ds_write2_b32 v248, v1, v122 offset0:7 offset1:250
	global_load_dword v1, v[66:67], off offset:3544
	v_lshrrev_b32_e32 v66, 16, v123
	s_waitcnt vmcnt(0)
	v_mul_f16_sdwa v67, v66, v1 dst_sel:DWORD dst_unused:UNUSED_PAD src0_sel:DWORD src1_sel:WORD_1
	v_fma_f16 v122, v123, v1, -v67
	v_mul_f16_sdwa v67, v123, v1 dst_sel:DWORD dst_unused:UNUSED_PAD src0_sel:DWORD src1_sel:WORD_1
	v_fma_f16 v1, v66, v1, v67
	v_add_co_u32_e32 v66, vcc, s2, v173
	v_addc_co_u32_e32 v67, vcc, 0, v174, vcc
	global_load_dword v124, v[66:67], off offset:420
	v_pack_b32_f16 v1, v122, v1
	ds_read2_b32 v[122:123], v140 offset0:8 offset1:251
	s_mov_b32 s2, 0xffff
	s_waitcnt lgkmcnt(0)
	v_lshrrev_b32_e32 v125, 16, v122
	s_waitcnt vmcnt(0)
	v_mul_f16_sdwa v126, v122, v124 dst_sel:DWORD dst_unused:UNUSED_PAD src0_sel:DWORD src1_sel:WORD_1
	v_fma_f16 v126, v125, v124, v126
	v_mul_f16_sdwa v125, v125, v124 dst_sel:DWORD dst_unused:UNUSED_PAD src0_sel:DWORD src1_sel:WORD_1
	v_fma_f16 v122, v122, v124, -v125
	v_pack_b32_f16 v122, v122, v126
	ds_write2_b32 v253, v1, v122 offset0:5 offset1:248
	global_load_dword v1, v[66:67], off offset:1392
	v_lshrrev_b32_e32 v122, 16, v123
	global_load_dword v66, v[66:67], off offset:2364
	ds_read_b32 v67, v129 offset:25272
	s_waitcnt vmcnt(1)
	v_mul_f16_sdwa v124, v122, v1 dst_sel:DWORD dst_unused:UNUSED_PAD src0_sel:DWORD src1_sel:WORD_1
	v_fma_f16 v124, v123, v1, -v124
	v_mul_f16_sdwa v123, v123, v1 dst_sel:DWORD dst_unused:UNUSED_PAD src0_sel:DWORD src1_sel:WORD_1
	v_fma_f16 v1, v122, v1, v123
	s_waitcnt lgkmcnt(0)
	v_lshrrev_b32_e32 v122, 16, v67
	s_waitcnt vmcnt(0)
	v_mul_f16_sdwa v123, v122, v66 dst_sel:DWORD dst_unused:UNUSED_PAD src0_sel:DWORD src1_sel:WORD_1
	v_fma_f16 v123, v67, v66, -v123
	v_mul_f16_sdwa v67, v67, v66 dst_sel:DWORD dst_unused:UNUSED_PAD src0_sel:DWORD src1_sel:WORD_1
	v_fma_f16 v66, v122, v66, v67
	v_pack_b32_f16 v1, v124, v1
	v_pack_b32_f16 v66, v123, v66
	ds_write2_b32 v254, v1, v66 offset0:11 offset1:254
	s_waitcnt lgkmcnt(0)
	s_barrier
	ds_read2_b32 v[66:67], v167 offset0:6 offset1:249
	ds_read2_b32 v[122:123], v170 offset0:8 offset1:251
	ds_read2_b32 v[124:125], v129 offset1:243
	s_waitcnt lgkmcnt(1)
	v_pk_add_f16 v1, v123, v66
	v_pk_add_f16 v126, v123, v66 neg_lo:[0,1] neg_hi:[0,1]
	s_waitcnt lgkmcnt(0)
	v_pk_fma_f16 v1, v1, 0.5, v124 op_sel_hi:[1,0,1] neg_lo:[1,0,0] neg_hi:[1,0,0]
	v_pk_mul_f16 v126, v126, s0 op_sel_hi:[1,0]
	v_pk_add_f16 v128, v1, v126 op_sel:[0,1] op_sel_hi:[1,0] neg_lo:[0,1] neg_hi:[0,1]
	v_pk_add_f16 v1, v1, v126 op_sel:[0,1] op_sel_hi:[1,0]
	v_pk_add_f16 v123, v124, v123
	v_pk_add_f16 v66, v123, v66
	v_bfi_b32 v171, s2, v128, v1
	ds_read_b32 v168, v129 offset:25272
	ds_read2_b32 v[123:124], v166 offset0:6 offset1:249
	ds_read2_b32 v[126:127], v163 offset0:6 offset1:249
	;; [unrolled: 1-line block ×9, first 2 shown]
	ds_read2_b32 v[249:250], v136 offset1:243
	s_waitcnt lgkmcnt(0)
	s_barrier
	ds_write2_b32 v189, v66, v171 offset1:1
	v_bfi_b32 v1, s2, v1, v128
	v_pk_add_f16 v66, v125, v123
	ds_write_b32 v189, v1 offset:8
	v_pk_add_f16 v1, v123, v67
	v_pk_add_f16 v66, v66, v67
	v_pk_add_f16 v67, v123, v67 neg_lo:[0,1] neg_hi:[0,1]
	v_pk_fma_f16 v1, v1, 0.5, v125 op_sel_hi:[1,0,1] neg_lo:[1,0,0] neg_hi:[1,0,0]
	v_pk_mul_f16 v67, v67, s0 op_sel_hi:[1,0]
	v_pk_add_f16 v123, v1, v67 op_sel:[0,1] op_sel_hi:[1,0] neg_lo:[0,1] neg_hi:[0,1]
	v_pk_add_f16 v1, v1, v67 op_sel:[0,1] op_sel_hi:[1,0]
	v_bfi_b32 v67, s2, v123, v1
	ds_write2_b32 v188, v66, v67 offset1:1
	v_pk_add_f16 v66, v124, v173
	v_pk_add_f16 v67, v124, v173 neg_lo:[0,1] neg_hi:[0,1]
	v_bfi_b32 v1, s2, v1, v123
	v_pk_fma_f16 v66, v66, 0.5, v126 op_sel_hi:[1,0,1] neg_lo:[1,0,0] neg_hi:[1,0,0]
	v_pk_mul_f16 v67, v67, s0 op_sel_hi:[1,0]
	ds_write_b32 v188, v1 offset:8
	v_pk_add_f16 v1, v126, v124
	v_pk_add_f16 v123, v66, v67 op_sel:[0,1] op_sel_hi:[1,0] neg_lo:[0,1] neg_hi:[0,1]
	v_pk_add_f16 v66, v66, v67 op_sel:[0,1] op_sel_hi:[1,0]
	v_pk_add_f16 v1, v1, v173
	v_bfi_b32 v67, s2, v123, v66
	ds_write2_b32 v187, v1, v67 offset1:1
	v_bfi_b32 v1, s2, v66, v123
	ds_write_b32 v187, v1 offset:8
	v_pk_add_f16 v1, v234, v174
	v_pk_add_f16 v67, v234, v174 neg_lo:[0,1] neg_hi:[0,1]
	v_pk_fma_f16 v1, v1, 0.5, v127 op_sel_hi:[1,0,1] neg_lo:[1,0,0] neg_hi:[1,0,0]
	v_pk_mul_f16 v67, v67, s0 op_sel_hi:[1,0]
	v_pk_add_f16 v66, v127, v234
	v_pk_add_f16 v123, v1, v67 op_sel:[0,1] op_sel_hi:[1,0] neg_lo:[0,1] neg_hi:[0,1]
	v_pk_add_f16 v1, v1, v67 op_sel:[0,1] op_sel_hi:[1,0]
	v_pk_add_f16 v66, v66, v174
	v_bfi_b32 v67, s2, v123, v1
	ds_write2_b32 v186, v66, v67 offset1:1
	v_pk_add_f16 v66, v235, v241
	v_pk_add_f16 v67, v235, v241 neg_lo:[0,1] neg_hi:[0,1]
	v_bfi_b32 v1, s2, v1, v123
	v_pk_fma_f16 v66, v66, 0.5, v239 op_sel_hi:[1,0,1] neg_lo:[1,0,0] neg_hi:[1,0,0]
	v_pk_mul_f16 v67, v67, s0 op_sel_hi:[1,0]
	ds_write_b32 v186, v1 offset:8
	v_pk_add_f16 v1, v239, v235
	v_pk_add_f16 v123, v66, v67 op_sel:[0,1] op_sel_hi:[1,0] neg_lo:[0,1] neg_hi:[0,1]
	v_pk_add_f16 v66, v66, v67 op_sel:[0,1] op_sel_hi:[1,0]
	v_pk_add_f16 v1, v1, v241
	v_bfi_b32 v67, s2, v123, v66
	ds_write2_b32 v185, v1, v67 offset1:1
	v_bfi_b32 v1, s2, v66, v123
	ds_write_b32 v185, v1 offset:8
	v_pk_add_f16 v1, v243, v242
	v_pk_add_f16 v67, v243, v242 neg_lo:[0,1] neg_hi:[0,1]
	v_pk_fma_f16 v1, v1, 0.5, v240 op_sel_hi:[1,0,1] neg_lo:[1,0,0] neg_hi:[1,0,0]
	v_pk_mul_f16 v67, v67, s0 op_sel_hi:[1,0]
	v_pk_add_f16 v66, v240, v243
	v_pk_add_f16 v123, v1, v67 op_sel:[0,1] op_sel_hi:[1,0] neg_lo:[0,1] neg_hi:[0,1]
	v_pk_add_f16 v1, v1, v67 op_sel:[0,1] op_sel_hi:[1,0]
	v_pk_add_f16 v66, v66, v242
	;; [unrolled: 24-line block ×3, first 2 shown]
	v_bfi_b32 v67, s2, v123, v1
	v_bfi_b32 v1, s2, v1, v123
	ds_write2_b32 v181, v66, v67 offset1:1
	ds_write_b32 v181, v1 offset:8
	v_pk_add_f16 v1, v250, v168
	v_pk_add_f16 v67, v250, v168 neg_lo:[0,1] neg_hi:[0,1]
	v_pk_fma_f16 v1, v1, 0.5, v122 op_sel_hi:[1,0,1] neg_lo:[1,0,0] neg_hi:[1,0,0]
	v_pk_mul_f16 v67, v67, s0 op_sel_hi:[1,0]
	v_pk_add_f16 v66, v122, v250
	v_pk_add_f16 v122, v1, v67 op_sel:[0,1] op_sel_hi:[1,0] neg_lo:[0,1] neg_hi:[0,1]
	v_pk_add_f16 v1, v1, v67 op_sel:[0,1] op_sel_hi:[1,0]
	v_pk_add_f16 v66, v66, v168
	v_bfi_b32 v67, s2, v122, v1
	v_bfi_b32 v1, s2, v1, v122
	ds_write2_b32 v180, v66, v67 offset1:1
	ds_write_b32 v180, v1 offset:8
	s_waitcnt lgkmcnt(0)
	s_barrier
	ds_read_b32 v1, v129 offset:25272
	ds_read2_b32 v[122:123], v136 offset1:243
	s_mov_b32 s2, 0x3fb013fb
	s_mov_b32 s3, 0x3f23fb01
	s_waitcnt lgkmcnt(1)
	v_lshrrev_b32_e32 v67, 16, v1
	v_mul_f16_sdwa v66, v21, v67 dst_sel:DWORD dst_unused:UNUSED_PAD src0_sel:WORD_1 src1_sel:DWORD
	v_fma_f16 v66, v21, v1, v66
	v_mul_f16_sdwa v1, v21, v1 dst_sel:DWORD dst_unused:UNUSED_PAD src0_sel:WORD_1 src1_sel:DWORD
	v_fma_f16 v21, v21, v67, -v1
	s_waitcnt lgkmcnt(0)
	v_lshrrev_b32_e32 v1, 16, v123
	v_mul_f16_sdwa v67, v20, v123 dst_sel:DWORD dst_unused:UNUSED_PAD src0_sel:WORD_1 src1_sel:DWORD
	v_fma_f16 v67, v20, v1, -v67
	v_mul_f16_sdwa v1, v20, v1 dst_sel:DWORD dst_unused:UNUSED_PAD src0_sel:WORD_1 src1_sel:DWORD
	v_fma_f16 v1, v20, v123, v1
	v_lshrrev_b32_e32 v20, 16, v122
	v_mul_f16_sdwa v123, v18, v20 dst_sel:DWORD dst_unused:UNUSED_PAD src0_sel:WORD_1 src1_sel:DWORD
	v_fma_f16 v124, v18, v122, v123
	v_mul_f16_sdwa v122, v18, v122 dst_sel:DWORD dst_unused:UNUSED_PAD src0_sel:WORD_1 src1_sel:DWORD
	v_fma_f16 v20, v18, v20, -v122
	ds_read2_b32 v[122:123], v140 offset0:8 offset1:251
	s_waitcnt lgkmcnt(0)
	v_lshrrev_b32_e32 v18, 16, v123
	v_mul_f16_sdwa v125, v19, v123 dst_sel:DWORD dst_unused:UNUSED_PAD src0_sel:WORD_1 src1_sel:DWORD
	v_fma_f16 v125, v19, v18, -v125
	v_mul_f16_sdwa v18, v19, v18 dst_sel:DWORD dst_unused:UNUSED_PAD src0_sel:WORD_1 src1_sel:DWORD
	v_fma_f16 v19, v19, v123, v18
	v_lshrrev_b32_e32 v18, 16, v122
	v_mul_f16_sdwa v123, v17, v18 dst_sel:DWORD dst_unused:UNUSED_PAD src0_sel:WORD_1 src1_sel:DWORD
	v_fma_f16 v123, v17, v122, v123
	v_mul_f16_sdwa v122, v17, v122 dst_sel:DWORD dst_unused:UNUSED_PAD src0_sel:WORD_1 src1_sel:DWORD
	v_fma_f16 v122, v17, v18, -v122
	ds_read2_b32 v[17:18], v147 offset0:10 offset1:253
	;; [unrolled: 12-line block ×8, first 2 shown]
	s_waitcnt lgkmcnt(0)
	v_lshrrev_b32_e32 v5, 16, v4
	v_mul_f16_sdwa v8, v2, v4 dst_sel:DWORD dst_unused:UNUSED_PAD src0_sel:WORD_1 src1_sel:DWORD
	v_fma_f16 v8, v2, v5, -v8
	v_mul_f16_sdwa v5, v2, v5 dst_sel:DWORD dst_unused:UNUSED_PAD src0_sel:WORD_1 src1_sel:DWORD
	v_fma_f16 v2, v2, v4, v5
	ds_read2_b32 v[4:5], v129 offset1:243
	v_sub_f16_e32 v234, v8, v6
	s_waitcnt lgkmcnt(0)
	v_lshrrev_b32_e32 v9, 16, v4
	v_add_f16_e32 v12, v9, v8
	v_add_f16_e32 v12, v12, v6
	;; [unrolled: 1-line block ×3, first 2 shown]
	v_fma_f16 v235, v6, -0.5, v9
	v_add_f16_e32 v6, v4, v2
	v_add_f16_e32 v8, v2, v7
	;; [unrolled: 1-line block ×3, first 2 shown]
	v_sub_f16_e32 v2, v2, v7
	v_fma_f16 v4, v8, -0.5, v4
	v_pack_b32_f16 v239, v6, v12
	v_fma_f16 v6, v234, s1, v4
	v_fma_f16 v7, v2, s0, v235
	;; [unrolled: 1-line block ×4, first 2 shown]
	v_pack_b32_f16 v2, v4, v2
	v_pack_b32_f16 v240, v6, v7
	ds_read2_b32 v[6:7], v163 offset0:6 offset1:249
	ds_read2_b32 v[8:9], v154 offset0:12 offset1:255
	;; [unrolled: 1-line block ×3, first 2 shown]
	s_waitcnt lgkmcnt(0)
	s_barrier
	ds_write_b32 v175, v2 offset:24
	v_add_f16_e32 v2, v186, v189
	v_lshrrev_b32_e32 v4, 16, v5
	ds_write2_b32 v175, v239, v240 offset1:3
	v_fma_f16 v2, v2, -0.5, v5
	v_add_f16_e32 v5, v5, v186
	v_add_f16_e32 v175, v4, v187
	v_sub_f16_e32 v234, v187, v188
	v_add_f16_e32 v187, v187, v188
	v_add_f16_e32 v175, v175, v188
	v_fma_f16 v4, v187, -0.5, v4
	v_add_f16_e32 v5, v5, v189
	v_sub_f16_e32 v186, v186, v189
	v_pack_b32_f16 v5, v5, v175
	v_fma_f16 v175, v234, s1, v2
	v_fma_f16 v187, v186, s0, v4
	;; [unrolled: 1-line block ×4, first 2 shown]
	v_pack_b32_f16 v175, v175, v187
	v_pack_b32_f16 v2, v2, v4
	ds_write2_b32 v176, v5, v175 offset1:3
	ds_write_b32 v176, v2 offset:24
	v_lshrrev_b32_e32 v2, 16, v6
	v_add_f16_e32 v175, v184, v182
	v_add_f16_e32 v4, v2, v184
	v_fma_f16 v2, v175, -0.5, v2
	v_add_f16_e32 v175, v6, v185
	v_add_f16_e32 v176, v185, v181
	v_add_f16_e32 v4, v4, v182
	v_sub_f16_e32 v5, v184, v182
	v_add_f16_e32 v175, v175, v181
	v_sub_f16_e32 v181, v185, v181
	v_fma_f16 v6, v176, -0.5, v6
	v_pack_b32_f16 v4, v175, v4
	v_fma_f16 v175, v5, s1, v6
	v_fma_f16 v176, v181, s0, v2
	v_pack_b32_f16 v175, v175, v176
	ds_write2_b32 v178, v4, v175 offset1:3
	v_fma_f16 v4, v5, s0, v6
	v_fma_f16 v2, v181, s1, v2
	v_pack_b32_f16 v2, v4, v2
	ds_write_b32 v178, v2 offset:24
	v_add_f16_e32 v2, v171, v180
	v_lshrrev_b32_e32 v4, 16, v7
	v_fma_f16 v2, v2, -0.5, v7
	v_add_f16_e32 v5, v7, v171
	v_add_f16_e32 v6, v4, v173
	v_sub_f16_e32 v7, v173, v174
	v_add_f16_e32 v173, v173, v174
	v_add_f16_e32 v6, v6, v174
	v_fma_f16 v4, v173, -0.5, v4
	v_add_f16_e32 v5, v5, v180
	v_sub_f16_e32 v171, v171, v180
	v_pack_b32_f16 v5, v5, v6
	v_fma_f16 v6, v7, s1, v2
	v_fma_f16 v173, v171, s0, v4
	;; [unrolled: 1-line block ×4, first 2 shown]
	v_pack_b32_f16 v6, v6, v173
	v_pack_b32_f16 v2, v2, v4
	ds_write2_b32 v179, v5, v6 offset1:3
	ds_write_b32 v179, v2 offset:24
	v_lshrrev_b32_e32 v2, 16, v8
	v_add_f16_e32 v6, v172, v16
	v_add_f16_e32 v4, v2, v172
	v_fma_f16 v2, v6, -0.5, v2
	v_add_f16_e32 v6, v8, v14
	v_add_f16_e32 v4, v4, v16
	;; [unrolled: 1-line block ×4, first 2 shown]
	v_sub_f16_e32 v5, v172, v16
	v_sub_f16_e32 v14, v14, v17
	v_pack_b32_f16 v4, v6, v4
	v_fma_f16 v6, v7, -0.5, v8
	v_fma_f16 v7, v5, s1, v6
	v_fma_f16 v8, v14, s0, v2
	v_pack_b32_f16 v7, v7, v8
	ds_write2_b32 v183, v4, v7 offset1:3
	v_fma_f16 v4, v5, s0, v6
	v_fma_f16 v2, v14, s1, v2
	v_pack_b32_f16 v2, v4, v2
	v_lshrrev_b32_e32 v4, 16, v9
	ds_write_b32 v183, v2 offset:24
	v_add_f16_e32 v2, v126, v15
	v_add_f16_e32 v5, v9, v126
	;; [unrolled: 1-line block ×4, first 2 shown]
	v_fma_f16 v2, v2, -0.5, v9
	v_add_f16_e32 v6, v6, v168
	v_sub_f16_e32 v7, v128, v168
	v_fma_f16 v4, v8, -0.5, v4
	v_add_f16_e32 v5, v5, v15
	v_sub_f16_e32 v8, v126, v15
	v_pack_b32_f16 v5, v5, v6
	v_fma_f16 v6, v7, s1, v2
	v_fma_f16 v9, v8, s0, v4
	;; [unrolled: 1-line block ×4, first 2 shown]
	v_pack_b32_f16 v6, v6, v9
	v_pack_b32_f16 v2, v2, v4
	ds_write2_b32 v190, v5, v6 offset1:3
	ds_write_b32 v190, v2 offset:24
	v_lshrrev_b32_e32 v2, 16, v12
	v_add_f16_e32 v6, v127, v122
	v_add_f16_e32 v4, v2, v127
	v_fma_f16 v2, v6, -0.5, v2
	v_add_f16_e32 v6, v12, v18
	v_add_f16_e32 v4, v4, v122
	;; [unrolled: 1-line block ×4, first 2 shown]
	v_sub_f16_e32 v5, v127, v122
	v_sub_f16_e32 v8, v18, v123
	v_pack_b32_f16 v4, v6, v4
	v_fma_f16 v6, v7, -0.5, v12
	v_fma_f16 v7, v5, s1, v6
	v_fma_f16 v9, v8, s0, v2
	v_pack_b32_f16 v7, v7, v9
	ds_write2_b32 v193, v4, v7 offset1:3
	v_fma_f16 v4, v5, s0, v6
	v_fma_f16 v2, v8, s1, v2
	v_pack_b32_f16 v2, v4, v2
	v_lshrrev_b32_e32 v4, 16, v13
	ds_write_b32 v193, v2 offset:24
	v_add_f16_e32 v2, v124, v19
	v_add_f16_e32 v5, v13, v124
	;; [unrolled: 1-line block ×4, first 2 shown]
	v_fma_f16 v2, v2, -0.5, v13
	v_add_f16_e32 v6, v6, v125
	v_sub_f16_e32 v7, v20, v125
	v_fma_f16 v4, v8, -0.5, v4
	v_add_f16_e32 v5, v5, v19
	v_sub_f16_e32 v8, v124, v19
	v_pack_b32_f16 v5, v5, v6
	v_fma_f16 v6, v7, s1, v2
	v_fma_f16 v9, v8, s0, v4
	;; [unrolled: 1-line block ×4, first 2 shown]
	v_pack_b32_f16 v2, v2, v4
	v_pack_b32_f16 v6, v6, v9
	ds_write_b32 v192, v2 offset:24
	v_add_f16_e32 v2, v1, v66
	v_lshrrev_b32_e32 v4, 16, v3
	ds_write2_b32 v192, v5, v6 offset1:3
	v_fma_f16 v2, v2, -0.5, v3
	v_add_f16_e32 v3, v3, v1
	v_add_f16_e32 v5, v4, v67
	;; [unrolled: 1-line block ×4, first 2 shown]
	v_sub_f16_e32 v6, v67, v21
	v_fma_f16 v4, v7, -0.5, v4
	v_add_f16_e32 v3, v3, v66
	v_sub_f16_e32 v1, v1, v66
	v_pack_b32_f16 v3, v3, v5
	v_fma_f16 v5, v6, s1, v2
	v_fma_f16 v7, v1, s0, v4
	v_fma_f16 v2, v6, s0, v2
	v_fma_f16 v1, v1, s1, v4
	v_pack_b32_f16 v5, v5, v7
	v_pack_b32_f16 v1, v2, v1
	ds_write2_b32 v191, v3, v5 offset1:3
	ds_write_b32 v191, v1 offset:24
	s_waitcnt lgkmcnt(0)
	s_barrier
	ds_read_b32 v1, v129 offset:25272
	ds_read2_b32 v[4:5], v136 offset1:243
	s_waitcnt lgkmcnt(1)
	v_lshrrev_b32_e32 v3, 16, v1
	v_mul_f16_sdwa v2, v41, v3 dst_sel:DWORD dst_unused:UNUSED_PAD src0_sel:WORD_1 src1_sel:DWORD
	v_fma_f16 v2, v41, v1, v2
	v_mul_f16_sdwa v1, v41, v1 dst_sel:DWORD dst_unused:UNUSED_PAD src0_sel:WORD_1 src1_sel:DWORD
	v_fma_f16 v3, v41, v3, -v1
	s_waitcnt lgkmcnt(0)
	v_lshrrev_b32_e32 v1, 16, v5
	v_mul_f16_sdwa v6, v40, v5 dst_sel:DWORD dst_unused:UNUSED_PAD src0_sel:WORD_1 src1_sel:DWORD
	v_fma_f16 v13, v40, v1, -v6
	v_mul_f16_sdwa v1, v40, v1 dst_sel:DWORD dst_unused:UNUSED_PAD src0_sel:WORD_1 src1_sel:DWORD
	v_fma_f16 v1, v40, v5, v1
	v_lshrrev_b32_e32 v5, 16, v4
	v_mul_f16_sdwa v6, v38, v5 dst_sel:DWORD dst_unused:UNUSED_PAD src0_sel:WORD_1 src1_sel:DWORD
	v_fma_f16 v14, v38, v4, v6
	v_mul_f16_sdwa v4, v38, v4 dst_sel:DWORD dst_unused:UNUSED_PAD src0_sel:WORD_1 src1_sel:DWORD
	v_fma_f16 v15, v38, v5, -v4
	ds_read2_b32 v[4:5], v140 offset0:8 offset1:251
	s_waitcnt lgkmcnt(0)
	v_lshrrev_b32_e32 v6, 16, v5
	v_mul_f16_sdwa v7, v39, v5 dst_sel:DWORD dst_unused:UNUSED_PAD src0_sel:WORD_1 src1_sel:DWORD
	v_fma_f16 v16, v39, v6, -v7
	v_mul_f16_sdwa v6, v39, v6 dst_sel:DWORD dst_unused:UNUSED_PAD src0_sel:WORD_1 src1_sel:DWORD
	v_fma_f16 v17, v39, v5, v6
	v_lshrrev_b32_e32 v5, 16, v4
	v_mul_f16_sdwa v6, v37, v5 dst_sel:DWORD dst_unused:UNUSED_PAD src0_sel:WORD_1 src1_sel:DWORD
	v_fma_f16 v18, v37, v4, v6
	v_mul_f16_sdwa v4, v37, v4 dst_sel:DWORD dst_unused:UNUSED_PAD src0_sel:WORD_1 src1_sel:DWORD
	v_fma_f16 v19, v37, v5, -v4
	ds_read2_b32 v[4:5], v147 offset0:10 offset1:253
	;; [unrolled: 12-line block ×8, first 2 shown]
	s_waitcnt lgkmcnt(0)
	v_lshrrev_b32_e32 v6, 16, v5
	v_mul_f16_sdwa v9, v10, v5 dst_sel:DWORD dst_unused:UNUSED_PAD src0_sel:WORD_1 src1_sel:DWORD
	v_fma_f16 v9, v10, v6, -v9
	v_mul_f16_sdwa v6, v10, v6 dst_sel:DWORD dst_unused:UNUSED_PAD src0_sel:WORD_1 src1_sel:DWORD
	v_fma_f16 v10, v10, v5, v6
	ds_read2_b32 v[5:6], v129 offset1:243
	v_sub_f16_e32 v124, v9, v8
	v_sub_f16_e32 v126, v10, v7
	s_waitcnt lgkmcnt(0)
	v_lshrrev_b32_e32 v11, 16, v5
	v_add_f16_e32 v12, v11, v9
	v_add_f16_e32 v12, v12, v8
	;; [unrolled: 1-line block ×4, first 2 shown]
	v_fma_f16 v125, v8, -0.5, v11
	v_add_f16_e32 v8, v5, v10
	v_fma_f16 v5, v9, -0.5, v5
	v_add_f16_e32 v8, v8, v7
	v_fma_f16 v7, v124, s1, v5
	v_fma_f16 v5, v124, s0, v5
	v_fma_f16 v124, v126, s1, v125
	v_pack_b32_f16 v127, v8, v12
	v_fma_f16 v8, v126, s0, v125
	v_pack_b32_f16 v5, v5, v124
	v_pack_b32_f16 v128, v7, v8
	ds_read2_b32 v[7:8], v163 offset0:6 offset1:249
	ds_read2_b32 v[9:10], v154 offset0:12 offset1:255
	;; [unrolled: 1-line block ×3, first 2 shown]
	s_waitcnt lgkmcnt(0)
	s_barrier
	ds_write_b32 v177, v5 offset:72
	v_add_f16_e32 v5, v122, v23
	v_lshrrev_b32_e32 v124, 16, v6
	v_fma_f16 v5, v5, -0.5, v6
	v_add_f16_e32 v6, v6, v122
	v_add_f16_e32 v125, v124, v22
	v_sub_f16_e32 v126, v22, v123
	v_add_f16_e32 v22, v22, v123
	v_fma_f16 v22, v22, -0.5, v124
	v_add_f16_e32 v6, v6, v23
	v_sub_f16_e32 v23, v122, v23
	v_add_f16_e32 v125, v125, v123
	v_fma_f16 v122, v126, s1, v5
	v_fma_f16 v123, v23, s0, v22
	v_pack_b32_f16 v6, v6, v125
	v_pack_b32_f16 v122, v122, v123
	ds_write2_b32 v177, v127, v128 offset1:9
	ds_write2_b32 v195, v6, v122 offset1:9
	v_fma_f16 v5, v126, s0, v5
	v_fma_f16 v6, v23, s1, v22
	v_pack_b32_f16 v5, v5, v6
	ds_write_b32 v195, v5 offset:72
	v_lshrrev_b32_e32 v5, 16, v7
	v_add_f16_e32 v6, v5, v67
	v_add_f16_e32 v23, v67, v27
	;; [unrolled: 1-line block ×3, first 2 shown]
	v_sub_f16_e32 v22, v67, v27
	v_fma_f16 v5, v23, -0.5, v5
	v_add_f16_e32 v23, v7, v26
	v_add_f16_e32 v27, v26, v66
	;; [unrolled: 1-line block ×3, first 2 shown]
	v_sub_f16_e32 v26, v26, v66
	v_fma_f16 v7, v27, -0.5, v7
	v_pack_b32_f16 v6, v23, v6
	v_fma_f16 v23, v22, s1, v7
	v_fma_f16 v27, v26, s0, v5
	v_pack_b32_f16 v23, v23, v27
	ds_write2_b32 v196, v6, v23 offset1:9
	v_fma_f16 v6, v22, s0, v7
	v_fma_f16 v5, v26, s1, v5
	v_pack_b32_f16 v5, v6, v5
	ds_write_b32 v196, v5 offset:72
	v_add_f16_e32 v5, v40, v29
	v_lshrrev_b32_e32 v6, 16, v8
	v_fma_f16 v5, v5, -0.5, v8
	v_add_f16_e32 v7, v8, v40
	v_add_f16_e32 v8, v6, v28
	;; [unrolled: 1-line block ×4, first 2 shown]
	v_sub_f16_e32 v22, v28, v41
	v_fma_f16 v6, v23, -0.5, v6
	v_add_f16_e32 v7, v7, v29
	v_sub_f16_e32 v23, v40, v29
	v_pack_b32_f16 v7, v7, v8
	v_fma_f16 v8, v22, s1, v5
	v_fma_f16 v26, v23, s0, v6
	;; [unrolled: 1-line block ×4, first 2 shown]
	v_pack_b32_f16 v8, v8, v26
	v_pack_b32_f16 v5, v5, v6
	ds_write2_b32 v197, v7, v8 offset1:9
	ds_write_b32 v197, v5 offset:72
	v_lshrrev_b32_e32 v5, 16, v9
	v_add_f16_e32 v8, v39, v31
	v_add_f16_e32 v6, v5, v39
	v_fma_f16 v5, v8, -0.5, v5
	v_add_f16_e32 v8, v9, v30
	v_add_f16_e32 v6, v6, v31
	;; [unrolled: 1-line block ×4, first 2 shown]
	v_sub_f16_e32 v7, v39, v31
	v_sub_f16_e32 v23, v30, v38
	v_pack_b32_f16 v6, v8, v6
	v_fma_f16 v8, v22, -0.5, v9
	v_fma_f16 v9, v7, s1, v8
	v_fma_f16 v22, v23, s0, v5
	v_pack_b32_f16 v9, v9, v22
	ds_write2_b32 v198, v6, v9 offset1:9
	v_fma_f16 v6, v7, s0, v8
	v_fma_f16 v5, v23, s1, v5
	v_pack_b32_f16 v5, v6, v5
	ds_write_b32 v198, v5 offset:72
	v_add_f16_e32 v5, v36, v35
	v_lshrrev_b32_e32 v6, 16, v10
	v_fma_f16 v5, v5, -0.5, v10
	v_add_f16_e32 v7, v10, v36
	v_add_f16_e32 v8, v6, v34
	;; [unrolled: 1-line block ×4, first 2 shown]
	v_sub_f16_e32 v9, v34, v37
	v_fma_f16 v6, v10, -0.5, v6
	v_add_f16_e32 v7, v7, v35
	v_sub_f16_e32 v10, v36, v35
	v_pack_b32_f16 v7, v7, v8
	v_fma_f16 v8, v9, s1, v5
	v_fma_f16 v22, v10, s0, v6
	;; [unrolled: 1-line block ×4, first 2 shown]
	v_pack_b32_f16 v8, v8, v22
	v_pack_b32_f16 v5, v5, v6
	ds_write2_b32 v199, v7, v8 offset1:9
	ds_write_b32 v199, v5 offset:72
	v_lshrrev_b32_e32 v5, 16, v11
	v_add_f16_e32 v8, v20, v19
	v_add_f16_e32 v6, v5, v20
	v_fma_f16 v5, v8, -0.5, v5
	v_add_f16_e32 v8, v11, v21
	v_add_f16_e32 v6, v6, v19
	;; [unrolled: 1-line block ×4, first 2 shown]
	v_sub_f16_e32 v7, v20, v19
	v_sub_f16_e32 v10, v21, v18
	v_pack_b32_f16 v6, v8, v6
	v_fma_f16 v8, v9, -0.5, v11
	v_fma_f16 v9, v7, s1, v8
	v_fma_f16 v11, v10, s0, v5
	v_pack_b32_f16 v9, v9, v11
	ds_write2_b32 v200, v6, v9 offset1:9
	v_fma_f16 v6, v7, s0, v8
	v_fma_f16 v5, v10, s1, v5
	v_pack_b32_f16 v5, v6, v5
	v_lshrrev_b32_e32 v6, 16, v12
	ds_write_b32 v200, v5 offset:72
	v_add_f16_e32 v5, v14, v17
	v_add_f16_e32 v7, v12, v14
	;; [unrolled: 1-line block ×4, first 2 shown]
	v_fma_f16 v5, v5, -0.5, v12
	v_add_f16_e32 v8, v8, v16
	v_sub_f16_e32 v9, v15, v16
	v_fma_f16 v6, v10, -0.5, v6
	v_add_f16_e32 v7, v7, v17
	v_sub_f16_e32 v10, v14, v17
	v_pack_b32_f16 v7, v7, v8
	v_fma_f16 v8, v9, s1, v5
	v_fma_f16 v11, v10, s0, v6
	;; [unrolled: 1-line block ×4, first 2 shown]
	v_pack_b32_f16 v8, v8, v11
	v_pack_b32_f16 v5, v5, v6
	v_lshrrev_b32_e32 v6, 16, v4
	ds_write2_b32 v202, v7, v8 offset1:9
	ds_write_b32 v202, v5 offset:72
	v_add_f16_e32 v5, v1, v2
	v_add_f16_e32 v7, v6, v13
	v_fma_f16 v5, v5, -0.5, v4
	v_add_f16_e32 v4, v4, v1
	v_add_f16_e32 v7, v7, v3
	v_sub_f16_e32 v8, v13, v3
	v_add_f16_e32 v3, v13, v3
	v_fma_f16 v3, v3, -0.5, v6
	v_add_f16_e32 v4, v4, v2
	v_sub_f16_e32 v1, v1, v2
	v_pack_b32_f16 v2, v4, v7
	v_fma_f16 v4, v8, s1, v5
	v_fma_f16 v6, v1, s0, v3
	v_pack_b32_f16 v4, v4, v6
	ds_write2_b32 v203, v2, v4 offset1:9
	v_fma_f16 v2, v8, s0, v5
	v_fma_f16 v1, v1, s1, v3
	v_pack_b32_f16 v1, v2, v1
	ds_write_b32 v203, v1 offset:72
	s_waitcnt lgkmcnt(0)
	s_barrier
	ds_read_b32 v1, v129 offset:25272
	ds_read2_b32 v[4:5], v136 offset1:243
	s_waitcnt lgkmcnt(1)
	v_lshrrev_b32_e32 v3, 16, v1
	v_mul_f16_sdwa v2, v63, v3 dst_sel:DWORD dst_unused:UNUSED_PAD src0_sel:WORD_1 src1_sel:DWORD
	v_fma_f16 v2, v63, v1, v2
	v_mul_f16_sdwa v1, v63, v1 dst_sel:DWORD dst_unused:UNUSED_PAD src0_sel:WORD_1 src1_sel:DWORD
	v_fma_f16 v3, v63, v3, -v1
	s_waitcnt lgkmcnt(0)
	v_lshrrev_b32_e32 v1, 16, v5
	v_mul_f16_sdwa v6, v62, v5 dst_sel:DWORD dst_unused:UNUSED_PAD src0_sel:WORD_1 src1_sel:DWORD
	v_fma_f16 v13, v62, v1, -v6
	v_mul_f16_sdwa v1, v62, v1 dst_sel:DWORD dst_unused:UNUSED_PAD src0_sel:WORD_1 src1_sel:DWORD
	v_fma_f16 v1, v62, v5, v1
	v_lshrrev_b32_e32 v5, 16, v4
	v_mul_f16_sdwa v6, v58, v5 dst_sel:DWORD dst_unused:UNUSED_PAD src0_sel:WORD_1 src1_sel:DWORD
	v_fma_f16 v14, v58, v4, v6
	v_mul_f16_sdwa v4, v58, v4 dst_sel:DWORD dst_unused:UNUSED_PAD src0_sel:WORD_1 src1_sel:DWORD
	v_fma_f16 v15, v58, v5, -v4
	ds_read2_b32 v[4:5], v140 offset0:8 offset1:251
	s_waitcnt lgkmcnt(0)
	v_lshrrev_b32_e32 v6, 16, v5
	v_mul_f16_sdwa v7, v59, v5 dst_sel:DWORD dst_unused:UNUSED_PAD src0_sel:WORD_1 src1_sel:DWORD
	v_fma_f16 v16, v59, v6, -v7
	v_mul_f16_sdwa v6, v59, v6 dst_sel:DWORD dst_unused:UNUSED_PAD src0_sel:WORD_1 src1_sel:DWORD
	v_fma_f16 v17, v59, v5, v6
	v_lshrrev_b32_e32 v5, 16, v4
	v_mul_f16_sdwa v6, v57, v5 dst_sel:DWORD dst_unused:UNUSED_PAD src0_sel:WORD_1 src1_sel:DWORD
	v_fma_f16 v18, v57, v4, v6
	v_mul_f16_sdwa v4, v57, v4 dst_sel:DWORD dst_unused:UNUSED_PAD src0_sel:WORD_1 src1_sel:DWORD
	v_fma_f16 v19, v57, v5, -v4
	ds_read2_b32 v[4:5], v147 offset0:10 offset1:253
	s_waitcnt lgkmcnt(0)
	v_lshrrev_b32_e32 v6, 16, v5
	v_mul_f16_sdwa v7, v56, v5 dst_sel:DWORD dst_unused:UNUSED_PAD src0_sel:WORD_1 src1_sel:DWORD
	v_fma_f16 v20, v56, v6, -v7
	v_mul_f16_sdwa v6, v56, v6 dst_sel:DWORD dst_unused:UNUSED_PAD src0_sel:WORD_1 src1_sel:DWORD
	v_fma_f16 v21, v56, v5, v6
	v_lshrrev_b32_e32 v5, 16, v4
	v_mul_f16_sdwa v6, v50, v5 dst_sel:DWORD dst_unused:UNUSED_PAD src0_sel:WORD_1 src1_sel:DWORD
	v_fma_f16 v22, v50, v4, v6
	v_mul_f16_sdwa v4, v50, v4 dst_sel:DWORD dst_unused:UNUSED_PAD src0_sel:WORD_1 src1_sel:DWORD
	v_fma_f16 v23, v50, v5, -v4
	ds_read2_b32 v[4:5], v152 offset0:2 offset1:245
	s_waitcnt lgkmcnt(0)
	v_lshrrev_b32_e32 v6, 16, v5
	v_mul_f16_sdwa v7, v51, v5 dst_sel:DWORD dst_unused:UNUSED_PAD src0_sel:WORD_1 src1_sel:DWORD
	v_fma_f16 v26, v51, v6, -v7
	v_mul_f16_sdwa v6, v51, v6 dst_sel:DWORD dst_unused:UNUSED_PAD src0_sel:WORD_1 src1_sel:DWORD
	v_fma_f16 v27, v51, v5, v6
	v_lshrrev_b32_e32 v5, 16, v4
	v_mul_f16_sdwa v6, v49, v5 dst_sel:DWORD dst_unused:UNUSED_PAD src0_sel:WORD_1 src1_sel:DWORD
	v_fma_f16 v28, v49, v4, v6
	v_mul_f16_sdwa v4, v49, v4 dst_sel:DWORD dst_unused:UNUSED_PAD src0_sel:WORD_1 src1_sel:DWORD
	v_fma_f16 v29, v49, v5, -v4
	ds_read2_b32 v[4:5], v157 offset0:4 offset1:247
	s_waitcnt lgkmcnt(0)
	v_lshrrev_b32_e32 v6, 16, v5
	v_mul_f16_sdwa v7, v48, v5 dst_sel:DWORD dst_unused:UNUSED_PAD src0_sel:WORD_1 src1_sel:DWORD
	v_fma_f16 v30, v48, v6, -v7
	v_mul_f16_sdwa v6, v48, v6 dst_sel:DWORD dst_unused:UNUSED_PAD src0_sel:WORD_1 src1_sel:DWORD
	v_fma_f16 v31, v48, v5, v6
	v_lshrrev_b32_e32 v5, 16, v4
	v_mul_f16_sdwa v6, v46, v5 dst_sel:DWORD dst_unused:UNUSED_PAD src0_sel:WORD_1 src1_sel:DWORD
	v_fma_f16 v34, v46, v4, v6
	v_mul_f16_sdwa v4, v46, v4 dst_sel:DWORD dst_unused:UNUSED_PAD src0_sel:WORD_1 src1_sel:DWORD
	v_fma_f16 v35, v46, v5, -v4
	ds_read2_b32 v[4:5], v164 offset0:12 offset1:255
	s_waitcnt lgkmcnt(0)
	v_lshrrev_b32_e32 v6, 16, v5
	v_mul_f16_sdwa v7, v47, v5 dst_sel:DWORD dst_unused:UNUSED_PAD src0_sel:WORD_1 src1_sel:DWORD
	v_fma_f16 v36, v47, v6, -v7
	v_mul_f16_sdwa v6, v47, v6 dst_sel:DWORD dst_unused:UNUSED_PAD src0_sel:WORD_1 src1_sel:DWORD
	v_fma_f16 v37, v47, v5, v6
	v_lshrrev_b32_e32 v5, 16, v4
	v_mul_f16_sdwa v6, v45, v5 dst_sel:DWORD dst_unused:UNUSED_PAD src0_sel:WORD_1 src1_sel:DWORD
	v_fma_f16 v38, v45, v4, v6
	v_mul_f16_sdwa v4, v45, v4 dst_sel:DWORD dst_unused:UNUSED_PAD src0_sel:WORD_1 src1_sel:DWORD
	v_fma_f16 v39, v45, v5, -v4
	ds_read2_b32 v[4:5], v166 offset0:6 offset1:249
	s_waitcnt lgkmcnt(0)
	v_lshrrev_b32_e32 v6, 16, v5
	v_mul_f16_sdwa v7, v44, v5 dst_sel:DWORD dst_unused:UNUSED_PAD src0_sel:WORD_1 src1_sel:DWORD
	v_fma_f16 v40, v44, v6, -v7
	v_mul_f16_sdwa v6, v44, v6 dst_sel:DWORD dst_unused:UNUSED_PAD src0_sel:WORD_1 src1_sel:DWORD
	v_fma_f16 v41, v44, v5, v6
	v_lshrrev_b32_e32 v5, 16, v4
	v_mul_f16_sdwa v6, v42, v5 dst_sel:DWORD dst_unused:UNUSED_PAD src0_sel:WORD_1 src1_sel:DWORD
	v_fma_f16 v44, v42, v4, v6
	v_mul_f16_sdwa v4, v42, v4 dst_sel:DWORD dst_unused:UNUSED_PAD src0_sel:WORD_1 src1_sel:DWORD
	v_fma_f16 v42, v42, v5, -v4
	ds_read2_b32 v[4:5], v167 offset0:6 offset1:249
	s_waitcnt lgkmcnt(0)
	v_lshrrev_b32_e32 v6, 16, v5
	v_mul_f16_sdwa v7, v43, v5 dst_sel:DWORD dst_unused:UNUSED_PAD src0_sel:WORD_1 src1_sel:DWORD
	v_fma_f16 v45, v43, v6, -v7
	v_mul_f16_sdwa v6, v43, v6 dst_sel:DWORD dst_unused:UNUSED_PAD src0_sel:WORD_1 src1_sel:DWORD
	v_fma_f16 v43, v43, v5, v6
	v_lshrrev_b32_e32 v5, 16, v4
	v_mul_f16_sdwa v6, v25, v5 dst_sel:DWORD dst_unused:UNUSED_PAD src0_sel:WORD_1 src1_sel:DWORD
	v_fma_f16 v7, v25, v4, v6
	v_mul_f16_sdwa v4, v25, v4 dst_sel:DWORD dst_unused:UNUSED_PAD src0_sel:WORD_1 src1_sel:DWORD
	v_fma_f16 v8, v25, v5, -v4
	ds_read2_b32 v[4:5], v170 offset0:8 offset1:251
	s_waitcnt lgkmcnt(0)
	v_lshrrev_b32_e32 v6, 16, v5
	v_mul_f16_sdwa v9, v24, v5 dst_sel:DWORD dst_unused:UNUSED_PAD src0_sel:WORD_1 src1_sel:DWORD
	v_fma_f16 v9, v24, v6, -v9
	v_mul_f16_sdwa v6, v24, v6 dst_sel:DWORD dst_unused:UNUSED_PAD src0_sel:WORD_1 src1_sel:DWORD
	v_fma_f16 v10, v24, v5, v6
	ds_read2_b32 v[5:6], v129 offset1:243
	v_sub_f16_e32 v24, v9, v8
	v_sub_f16_e32 v46, v10, v7
	s_waitcnt lgkmcnt(0)
	v_lshrrev_b32_e32 v11, 16, v5
	v_add_f16_e32 v12, v11, v9
	v_add_f16_e32 v12, v12, v8
	;; [unrolled: 1-line block ×4, first 2 shown]
	v_fma_f16 v25, v8, -0.5, v11
	v_add_f16_e32 v8, v5, v10
	v_fma_f16 v5, v9, -0.5, v5
	v_add_f16_e32 v8, v8, v7
	v_fma_f16 v7, v24, s1, v5
	v_fma_f16 v5, v24, s0, v5
	;; [unrolled: 1-line block ×3, first 2 shown]
	v_pack_b32_f16 v47, v8, v12
	v_fma_f16 v8, v46, s0, v25
	v_pack_b32_f16 v5, v5, v24
	v_pack_b32_f16 v48, v7, v8
	ds_read2_b32 v[7:8], v163 offset0:6 offset1:249
	ds_read2_b32 v[9:10], v154 offset0:12 offset1:255
	;; [unrolled: 1-line block ×3, first 2 shown]
	s_waitcnt lgkmcnt(0)
	s_barrier
	ds_write_b32 v194, v5 offset:216
	v_add_f16_e32 v5, v44, v43
	v_lshrrev_b32_e32 v24, 16, v6
	v_fma_f16 v5, v5, -0.5, v6
	v_add_f16_e32 v6, v6, v44
	v_add_f16_e32 v25, v24, v42
	v_sub_f16_e32 v46, v42, v45
	v_add_f16_e32 v42, v42, v45
	v_add_f16_e32 v25, v25, v45
	v_fma_f16 v24, v42, -0.5, v24
	v_add_f16_e32 v6, v6, v43
	v_sub_f16_e32 v42, v44, v43
	v_pack_b32_f16 v6, v6, v25
	v_fma_f16 v25, v46, s1, v5
	v_fma_f16 v43, v42, s0, v24
	v_pack_b32_f16 v25, v25, v43
	ds_write2_b32 v194, v47, v48 offset1:27
	ds_write2_b32 v204, v6, v25 offset1:27
	v_fma_f16 v5, v46, s0, v5
	v_fma_f16 v6, v42, s1, v24
	v_pack_b32_f16 v5, v5, v6
	ds_write_b32 v204, v5 offset:216
	v_lshrrev_b32_e32 v5, 16, v7
	v_add_f16_e32 v6, v5, v40
	v_add_f16_e32 v25, v40, v39
	;; [unrolled: 1-line block ×3, first 2 shown]
	v_sub_f16_e32 v24, v40, v39
	v_fma_f16 v5, v25, -0.5, v5
	v_add_f16_e32 v25, v7, v41
	v_add_f16_e32 v39, v41, v38
	;; [unrolled: 1-line block ×3, first 2 shown]
	v_sub_f16_e32 v38, v41, v38
	v_fma_f16 v7, v39, -0.5, v7
	v_pack_b32_f16 v6, v25, v6
	v_fma_f16 v25, v24, s1, v7
	v_fma_f16 v39, v38, s0, v5
	v_pack_b32_f16 v25, v25, v39
	ds_write2_b32 v205, v6, v25 offset1:27
	v_fma_f16 v6, v24, s0, v7
	v_fma_f16 v5, v38, s1, v5
	v_pack_b32_f16 v5, v6, v5
	ds_write_b32 v205, v5 offset:216
	v_add_f16_e32 v5, v34, v37
	v_lshrrev_b32_e32 v6, 16, v8
	v_fma_f16 v5, v5, -0.5, v8
	v_add_f16_e32 v7, v8, v34
	v_add_f16_e32 v8, v6, v35
	;; [unrolled: 1-line block ×4, first 2 shown]
	v_sub_f16_e32 v24, v35, v36
	v_fma_f16 v6, v25, -0.5, v6
	v_add_f16_e32 v7, v7, v37
	v_sub_f16_e32 v25, v34, v37
	v_pack_b32_f16 v7, v7, v8
	v_fma_f16 v8, v24, s1, v5
	v_fma_f16 v34, v25, s0, v6
	;; [unrolled: 1-line block ×4, first 2 shown]
	v_pack_b32_f16 v8, v8, v34
	v_pack_b32_f16 v5, v5, v6
	ds_write2_b32 v206, v7, v8 offset1:27
	ds_write_b32 v206, v5 offset:216
	v_lshrrev_b32_e32 v5, 16, v9
	v_add_f16_e32 v8, v30, v29
	v_add_f16_e32 v6, v5, v30
	v_fma_f16 v5, v8, -0.5, v5
	v_add_f16_e32 v8, v9, v31
	v_add_f16_e32 v6, v6, v29
	;; [unrolled: 1-line block ×4, first 2 shown]
	v_sub_f16_e32 v7, v30, v29
	v_sub_f16_e32 v25, v31, v28
	v_pack_b32_f16 v6, v8, v6
	v_fma_f16 v8, v24, -0.5, v9
	v_fma_f16 v9, v7, s1, v8
	v_fma_f16 v24, v25, s0, v5
	v_pack_b32_f16 v9, v9, v24
	ds_write2_b32 v207, v6, v9 offset1:27
	v_fma_f16 v6, v7, s0, v8
	v_fma_f16 v5, v25, s1, v5
	v_pack_b32_f16 v5, v6, v5
	ds_write_b32 v207, v5 offset:216
	v_add_f16_e32 v5, v22, v27
	v_lshrrev_b32_e32 v6, 16, v10
	v_fma_f16 v5, v5, -0.5, v10
	v_add_f16_e32 v7, v10, v22
	v_add_f16_e32 v8, v6, v23
	;; [unrolled: 1-line block ×4, first 2 shown]
	v_sub_f16_e32 v9, v23, v26
	v_fma_f16 v6, v10, -0.5, v6
	v_add_f16_e32 v7, v7, v27
	v_sub_f16_e32 v10, v22, v27
	v_pack_b32_f16 v7, v7, v8
	v_fma_f16 v8, v9, s1, v5
	v_fma_f16 v22, v10, s0, v6
	;; [unrolled: 1-line block ×4, first 2 shown]
	v_pack_b32_f16 v8, v8, v22
	v_pack_b32_f16 v5, v5, v6
	ds_write2_b32 v208, v7, v8 offset1:27
	ds_write_b32 v208, v5 offset:216
	v_lshrrev_b32_e32 v5, 16, v11
	v_add_f16_e32 v8, v20, v19
	v_add_f16_e32 v6, v5, v20
	v_fma_f16 v5, v8, -0.5, v5
	v_add_f16_e32 v8, v11, v21
	v_add_f16_e32 v6, v6, v19
	;; [unrolled: 1-line block ×4, first 2 shown]
	v_sub_f16_e32 v7, v20, v19
	v_sub_f16_e32 v10, v21, v18
	v_pack_b32_f16 v6, v8, v6
	v_fma_f16 v8, v9, -0.5, v11
	v_fma_f16 v9, v7, s1, v8
	v_fma_f16 v11, v10, s0, v5
	v_pack_b32_f16 v9, v9, v11
	ds_write2_b32 v209, v6, v9 offset1:27
	v_fma_f16 v6, v7, s0, v8
	v_fma_f16 v5, v10, s1, v5
	v_pack_b32_f16 v5, v6, v5
	v_lshrrev_b32_e32 v6, 16, v12
	ds_write_b32 v209, v5 offset:216
	v_add_f16_e32 v5, v14, v17
	v_add_f16_e32 v7, v12, v14
	;; [unrolled: 1-line block ×4, first 2 shown]
	v_fma_f16 v5, v5, -0.5, v12
	v_add_f16_e32 v8, v8, v16
	v_sub_f16_e32 v9, v15, v16
	v_fma_f16 v6, v10, -0.5, v6
	v_add_f16_e32 v7, v7, v17
	v_sub_f16_e32 v10, v14, v17
	v_pack_b32_f16 v7, v7, v8
	v_fma_f16 v8, v9, s1, v5
	v_fma_f16 v11, v10, s0, v6
	;; [unrolled: 1-line block ×4, first 2 shown]
	v_pack_b32_f16 v8, v8, v11
	v_pack_b32_f16 v5, v5, v6
	v_lshrrev_b32_e32 v6, 16, v4
	ds_write2_b32 v210, v7, v8 offset1:27
	ds_write_b32 v210, v5 offset:216
	v_add_f16_e32 v5, v1, v2
	v_add_f16_e32 v7, v6, v13
	v_fma_f16 v5, v5, -0.5, v4
	v_add_f16_e32 v4, v4, v1
	v_add_f16_e32 v7, v7, v3
	v_sub_f16_e32 v8, v13, v3
	v_add_f16_e32 v3, v13, v3
	v_fma_f16 v3, v3, -0.5, v6
	v_add_f16_e32 v4, v4, v2
	v_sub_f16_e32 v1, v1, v2
	v_pack_b32_f16 v2, v4, v7
	v_fma_f16 v4, v8, s1, v5
	v_fma_f16 v6, v1, s0, v3
	v_pack_b32_f16 v4, v4, v6
	ds_write2_b32 v211, v2, v4 offset1:27
	v_fma_f16 v2, v8, s0, v5
	v_fma_f16 v1, v1, s1, v3
	v_pack_b32_f16 v1, v2, v1
	ds_write_b32 v211, v1 offset:216
	s_waitcnt lgkmcnt(0)
	s_barrier
	ds_read_b32 v1, v129 offset:25272
	ds_read2_b32 v[4:5], v136 offset1:243
	s_waitcnt lgkmcnt(1)
	v_lshrrev_b32_e32 v3, 16, v1
	v_mul_f16_sdwa v2, v81, v3 dst_sel:DWORD dst_unused:UNUSED_PAD src0_sel:WORD_1 src1_sel:DWORD
	v_fma_f16 v2, v81, v1, v2
	v_mul_f16_sdwa v1, v81, v1 dst_sel:DWORD dst_unused:UNUSED_PAD src0_sel:WORD_1 src1_sel:DWORD
	v_fma_f16 v3, v81, v3, -v1
	s_waitcnt lgkmcnt(0)
	v_lshrrev_b32_e32 v1, 16, v5
	v_mul_f16_sdwa v6, v80, v5 dst_sel:DWORD dst_unused:UNUSED_PAD src0_sel:WORD_1 src1_sel:DWORD
	v_fma_f16 v13, v80, v1, -v6
	v_mul_f16_sdwa v1, v80, v1 dst_sel:DWORD dst_unused:UNUSED_PAD src0_sel:WORD_1 src1_sel:DWORD
	v_fma_f16 v1, v80, v5, v1
	v_lshrrev_b32_e32 v5, 16, v4
	v_mul_f16_sdwa v6, v74, v5 dst_sel:DWORD dst_unused:UNUSED_PAD src0_sel:WORD_1 src1_sel:DWORD
	v_fma_f16 v14, v74, v4, v6
	v_mul_f16_sdwa v4, v74, v4 dst_sel:DWORD dst_unused:UNUSED_PAD src0_sel:WORD_1 src1_sel:DWORD
	v_fma_f16 v15, v74, v5, -v4
	ds_read2_b32 v[4:5], v140 offset0:8 offset1:251
	s_waitcnt lgkmcnt(0)
	v_lshrrev_b32_e32 v6, 16, v5
	v_mul_f16_sdwa v7, v75, v5 dst_sel:DWORD dst_unused:UNUSED_PAD src0_sel:WORD_1 src1_sel:DWORD
	v_fma_f16 v16, v75, v6, -v7
	v_mul_f16_sdwa v6, v75, v6 dst_sel:DWORD dst_unused:UNUSED_PAD src0_sel:WORD_1 src1_sel:DWORD
	v_fma_f16 v17, v75, v5, v6
	v_lshrrev_b32_e32 v5, 16, v4
	v_mul_f16_sdwa v6, v73, v5 dst_sel:DWORD dst_unused:UNUSED_PAD src0_sel:WORD_1 src1_sel:DWORD
	v_fma_f16 v18, v73, v4, v6
	v_mul_f16_sdwa v4, v73, v4 dst_sel:DWORD dst_unused:UNUSED_PAD src0_sel:WORD_1 src1_sel:DWORD
	v_fma_f16 v19, v73, v5, -v4
	ds_read2_b32 v[4:5], v147 offset0:10 offset1:253
	s_waitcnt lgkmcnt(0)
	v_lshrrev_b32_e32 v6, 16, v5
	v_mul_f16_sdwa v7, v72, v5 dst_sel:DWORD dst_unused:UNUSED_PAD src0_sel:WORD_1 src1_sel:DWORD
	v_fma_f16 v20, v72, v6, -v7
	v_mul_f16_sdwa v6, v72, v6 dst_sel:DWORD dst_unused:UNUSED_PAD src0_sel:WORD_1 src1_sel:DWORD
	v_fma_f16 v21, v72, v5, v6
	v_lshrrev_b32_e32 v5, 16, v4
	v_mul_f16_sdwa v6, v70, v5 dst_sel:DWORD dst_unused:UNUSED_PAD src0_sel:WORD_1 src1_sel:DWORD
	v_fma_f16 v22, v70, v4, v6
	v_mul_f16_sdwa v4, v70, v4 dst_sel:DWORD dst_unused:UNUSED_PAD src0_sel:WORD_1 src1_sel:DWORD
	v_fma_f16 v23, v70, v5, -v4
	ds_read2_b32 v[4:5], v152 offset0:2 offset1:245
	s_waitcnt lgkmcnt(0)
	v_lshrrev_b32_e32 v6, 16, v5
	v_mul_f16_sdwa v7, v71, v5 dst_sel:DWORD dst_unused:UNUSED_PAD src0_sel:WORD_1 src1_sel:DWORD
	v_fma_f16 v24, v71, v6, -v7
	v_mul_f16_sdwa v6, v71, v6 dst_sel:DWORD dst_unused:UNUSED_PAD src0_sel:WORD_1 src1_sel:DWORD
	v_fma_f16 v25, v71, v5, v6
	v_lshrrev_b32_e32 v5, 16, v4
	v_mul_f16_sdwa v6, v69, v5 dst_sel:DWORD dst_unused:UNUSED_PAD src0_sel:WORD_1 src1_sel:DWORD
	v_fma_f16 v26, v69, v4, v6
	v_mul_f16_sdwa v4, v69, v4 dst_sel:DWORD dst_unused:UNUSED_PAD src0_sel:WORD_1 src1_sel:DWORD
	v_fma_f16 v27, v69, v5, -v4
	ds_read2_b32 v[4:5], v157 offset0:4 offset1:247
	s_waitcnt lgkmcnt(0)
	v_lshrrev_b32_e32 v6, 16, v5
	v_mul_f16_sdwa v7, v68, v5 dst_sel:DWORD dst_unused:UNUSED_PAD src0_sel:WORD_1 src1_sel:DWORD
	v_fma_f16 v28, v68, v6, -v7
	v_mul_f16_sdwa v6, v68, v6 dst_sel:DWORD dst_unused:UNUSED_PAD src0_sel:WORD_1 src1_sel:DWORD
	v_fma_f16 v29, v68, v5, v6
	v_lshrrev_b32_e32 v5, 16, v4
	v_mul_f16_sdwa v6, v64, v5 dst_sel:DWORD dst_unused:UNUSED_PAD src0_sel:WORD_1 src1_sel:DWORD
	v_fma_f16 v30, v64, v4, v6
	v_mul_f16_sdwa v4, v64, v4 dst_sel:DWORD dst_unused:UNUSED_PAD src0_sel:WORD_1 src1_sel:DWORD
	v_fma_f16 v31, v64, v5, -v4
	ds_read2_b32 v[4:5], v164 offset0:12 offset1:255
	s_waitcnt lgkmcnt(0)
	v_lshrrev_b32_e32 v6, 16, v5
	v_mul_f16_sdwa v7, v65, v5 dst_sel:DWORD dst_unused:UNUSED_PAD src0_sel:WORD_1 src1_sel:DWORD
	v_fma_f16 v34, v65, v6, -v7
	v_mul_f16_sdwa v6, v65, v6 dst_sel:DWORD dst_unused:UNUSED_PAD src0_sel:WORD_1 src1_sel:DWORD
	v_fma_f16 v35, v65, v5, v6
	v_lshrrev_b32_e32 v5, 16, v4
	v_mul_f16_sdwa v6, v61, v5 dst_sel:DWORD dst_unused:UNUSED_PAD src0_sel:WORD_1 src1_sel:DWORD
	v_fma_f16 v36, v61, v4, v6
	v_mul_f16_sdwa v4, v61, v4 dst_sel:DWORD dst_unused:UNUSED_PAD src0_sel:WORD_1 src1_sel:DWORD
	v_fma_f16 v37, v61, v5, -v4
	ds_read2_b32 v[4:5], v166 offset0:6 offset1:249
	s_waitcnt lgkmcnt(0)
	v_lshrrev_b32_e32 v6, 16, v5
	v_mul_f16_sdwa v7, v60, v5 dst_sel:DWORD dst_unused:UNUSED_PAD src0_sel:WORD_1 src1_sel:DWORD
	v_fma_f16 v38, v60, v6, -v7
	v_mul_f16_sdwa v6, v60, v6 dst_sel:DWORD dst_unused:UNUSED_PAD src0_sel:WORD_1 src1_sel:DWORD
	v_fma_f16 v39, v60, v5, v6
	v_lshrrev_b32_e32 v5, 16, v4
	v_mul_f16_sdwa v6, v54, v5 dst_sel:DWORD dst_unused:UNUSED_PAD src0_sel:WORD_1 src1_sel:DWORD
	v_fma_f16 v40, v54, v4, v6
	v_mul_f16_sdwa v4, v54, v4 dst_sel:DWORD dst_unused:UNUSED_PAD src0_sel:WORD_1 src1_sel:DWORD
	v_fma_f16 v41, v54, v5, -v4
	ds_read2_b32 v[4:5], v167 offset0:6 offset1:249
	s_waitcnt lgkmcnt(0)
	v_lshrrev_b32_e32 v6, 16, v5
	v_mul_f16_sdwa v7, v55, v5 dst_sel:DWORD dst_unused:UNUSED_PAD src0_sel:WORD_1 src1_sel:DWORD
	v_fma_f16 v42, v55, v6, -v7
	v_mul_f16_sdwa v6, v55, v6 dst_sel:DWORD dst_unused:UNUSED_PAD src0_sel:WORD_1 src1_sel:DWORD
	v_fma_f16 v43, v55, v5, v6
	v_lshrrev_b32_e32 v5, 16, v4
	v_mul_f16_sdwa v6, v33, v5 dst_sel:DWORD dst_unused:UNUSED_PAD src0_sel:WORD_1 src1_sel:DWORD
	v_fma_f16 v7, v33, v4, v6
	v_mul_f16_sdwa v4, v33, v4 dst_sel:DWORD dst_unused:UNUSED_PAD src0_sel:WORD_1 src1_sel:DWORD
	v_fma_f16 v8, v33, v5, -v4
	ds_read2_b32 v[4:5], v170 offset0:8 offset1:251
	s_waitcnt lgkmcnt(0)
	v_lshrrev_b32_e32 v6, 16, v5
	v_mul_f16_sdwa v9, v32, v5 dst_sel:DWORD dst_unused:UNUSED_PAD src0_sel:WORD_1 src1_sel:DWORD
	v_fma_f16 v9, v32, v6, -v9
	v_mul_f16_sdwa v6, v32, v6 dst_sel:DWORD dst_unused:UNUSED_PAD src0_sel:WORD_1 src1_sel:DWORD
	v_fma_f16 v10, v32, v5, v6
	ds_read2_b32 v[5:6], v129 offset1:243
	v_sub_f16_e32 v32, v9, v8
	v_sub_f16_e32 v44, v10, v7
	s_waitcnt lgkmcnt(0)
	v_lshrrev_b32_e32 v11, 16, v5
	v_add_f16_e32 v12, v11, v9
	v_add_f16_e32 v12, v12, v8
	;; [unrolled: 1-line block ×4, first 2 shown]
	v_fma_f16 v33, v8, -0.5, v11
	v_add_f16_e32 v8, v5, v10
	v_fma_f16 v5, v9, -0.5, v5
	v_add_f16_e32 v8, v8, v7
	v_fma_f16 v7, v32, s1, v5
	v_fma_f16 v5, v32, s0, v5
	;; [unrolled: 1-line block ×3, first 2 shown]
	v_pack_b32_f16 v45, v8, v12
	v_fma_f16 v8, v44, s0, v33
	v_pack_b32_f16 v5, v5, v32
	v_pack_b32_f16 v46, v7, v8
	ds_read2_b32 v[7:8], v163 offset0:6 offset1:249
	ds_read2_b32 v[9:10], v154 offset0:12 offset1:255
	;; [unrolled: 1-line block ×3, first 2 shown]
	s_waitcnt lgkmcnt(0)
	s_barrier
	ds_write_b32 v201, v5 offset:648
	v_add_f16_e32 v5, v40, v43
	v_lshrrev_b32_e32 v32, 16, v6
	v_fma_f16 v5, v5, -0.5, v6
	v_add_f16_e32 v6, v6, v40
	v_add_f16_e32 v33, v32, v41
	v_sub_f16_e32 v44, v41, v42
	v_add_f16_e32 v41, v41, v42
	v_add_f16_e32 v33, v33, v42
	v_fma_f16 v32, v41, -0.5, v32
	v_add_f16_e32 v6, v6, v43
	v_sub_f16_e32 v40, v40, v43
	v_pack_b32_f16 v6, v6, v33
	v_fma_f16 v33, v44, s1, v5
	v_fma_f16 v41, v40, s0, v32
	v_pack_b32_f16 v33, v33, v41
	ds_write2_b32 v201, v45, v46 offset1:81
	ds_write2_b32 v212, v6, v33 offset1:81
	v_fma_f16 v5, v44, s0, v5
	v_fma_f16 v6, v40, s1, v32
	v_pack_b32_f16 v5, v5, v6
	ds_write_b32 v212, v5 offset:648
	v_lshrrev_b32_e32 v5, 16, v7
	v_add_f16_e32 v6, v5, v38
	v_add_f16_e32 v33, v38, v37
	;; [unrolled: 1-line block ×3, first 2 shown]
	v_sub_f16_e32 v32, v38, v37
	v_fma_f16 v5, v33, -0.5, v5
	v_add_f16_e32 v33, v7, v39
	v_add_f16_e32 v37, v39, v36
	;; [unrolled: 1-line block ×3, first 2 shown]
	v_sub_f16_e32 v36, v39, v36
	v_fma_f16 v7, v37, -0.5, v7
	v_pack_b32_f16 v6, v33, v6
	v_fma_f16 v33, v32, s1, v7
	v_fma_f16 v37, v36, s0, v5
	v_pack_b32_f16 v33, v33, v37
	ds_write2_b32 v213, v6, v33 offset1:81
	v_fma_f16 v6, v32, s0, v7
	v_fma_f16 v5, v36, s1, v5
	v_pack_b32_f16 v5, v6, v5
	ds_write_b32 v213, v5 offset:648
	v_add_f16_e32 v5, v30, v35
	v_lshrrev_b32_e32 v6, 16, v8
	v_fma_f16 v5, v5, -0.5, v8
	v_add_f16_e32 v7, v8, v30
	v_add_f16_e32 v8, v6, v31
	v_sub_f16_e32 v32, v31, v34
	v_add_f16_e32 v31, v31, v34
	v_add_f16_e32 v8, v8, v34
	v_fma_f16 v6, v31, -0.5, v6
	v_add_f16_e32 v7, v7, v35
	v_sub_f16_e32 v30, v30, v35
	v_pack_b32_f16 v7, v7, v8
	v_fma_f16 v8, v32, s1, v5
	v_fma_f16 v31, v30, s0, v6
	;; [unrolled: 1-line block ×4, first 2 shown]
	v_pack_b32_f16 v8, v8, v31
	v_pack_b32_f16 v5, v5, v6
	ds_write2_b32 v214, v7, v8 offset1:81
	ds_write_b32 v214, v5 offset:648
	v_lshrrev_b32_e32 v5, 16, v9
	v_add_f16_e32 v8, v28, v27
	v_add_f16_e32 v6, v5, v28
	v_fma_f16 v5, v8, -0.5, v5
	v_add_f16_e32 v8, v9, v29
	v_add_f16_e32 v6, v6, v27
	v_sub_f16_e32 v7, v28, v27
	v_add_f16_e32 v8, v8, v26
	v_add_f16_e32 v27, v29, v26
	v_sub_f16_e32 v26, v29, v26
	v_pack_b32_f16 v6, v8, v6
	v_fma_f16 v8, v27, -0.5, v9
	v_fma_f16 v9, v7, s1, v8
	v_fma_f16 v27, v26, s0, v5
	v_pack_b32_f16 v9, v9, v27
	ds_write2_b32 v215, v6, v9 offset1:81
	v_fma_f16 v6, v7, s0, v8
	v_fma_f16 v5, v26, s1, v5
	v_pack_b32_f16 v5, v6, v5
	ds_write_b32 v215, v5 offset:648
	v_add_f16_e32 v5, v22, v25
	v_lshrrev_b32_e32 v6, 16, v10
	v_fma_f16 v5, v5, -0.5, v10
	v_add_f16_e32 v7, v10, v22
	v_add_f16_e32 v8, v6, v23
	;; [unrolled: 1-line block ×4, first 2 shown]
	v_sub_f16_e32 v9, v23, v24
	v_fma_f16 v6, v10, -0.5, v6
	v_add_f16_e32 v7, v7, v25
	v_sub_f16_e32 v10, v22, v25
	v_pack_b32_f16 v7, v7, v8
	v_fma_f16 v8, v9, s1, v5
	v_fma_f16 v22, v10, s0, v6
	;; [unrolled: 1-line block ×4, first 2 shown]
	v_pack_b32_f16 v8, v8, v22
	v_pack_b32_f16 v5, v5, v6
	ds_write2_b32 v216, v7, v8 offset1:81
	ds_write_b32 v216, v5 offset:648
	v_lshrrev_b32_e32 v5, 16, v11
	v_add_f16_e32 v8, v20, v19
	v_add_f16_e32 v6, v5, v20
	v_fma_f16 v5, v8, -0.5, v5
	v_add_f16_e32 v8, v11, v21
	v_add_f16_e32 v6, v6, v19
	;; [unrolled: 1-line block ×4, first 2 shown]
	v_sub_f16_e32 v7, v20, v19
	v_sub_f16_e32 v10, v21, v18
	v_pack_b32_f16 v6, v8, v6
	v_fma_f16 v8, v9, -0.5, v11
	v_fma_f16 v9, v7, s1, v8
	v_fma_f16 v11, v10, s0, v5
	v_pack_b32_f16 v9, v9, v11
	ds_write2_b32 v218, v6, v9 offset1:81
	v_fma_f16 v6, v7, s0, v8
	v_fma_f16 v5, v10, s1, v5
	v_pack_b32_f16 v5, v6, v5
	v_lshrrev_b32_e32 v6, 16, v12
	ds_write_b32 v218, v5 offset:648
	v_add_f16_e32 v5, v14, v17
	v_add_f16_e32 v7, v12, v14
	;; [unrolled: 1-line block ×4, first 2 shown]
	v_fma_f16 v5, v5, -0.5, v12
	v_add_f16_e32 v8, v8, v16
	v_sub_f16_e32 v9, v15, v16
	v_fma_f16 v6, v10, -0.5, v6
	v_add_f16_e32 v7, v7, v17
	v_sub_f16_e32 v10, v14, v17
	v_pack_b32_f16 v7, v7, v8
	v_fma_f16 v8, v9, s1, v5
	v_fma_f16 v11, v10, s0, v6
	;; [unrolled: 1-line block ×4, first 2 shown]
	v_pack_b32_f16 v5, v5, v6
	v_pack_b32_f16 v8, v8, v11
	ds_write_b32 v217, v5 offset:648
	v_add_f16_e32 v5, v1, v2
	ds_write2_b32 v217, v7, v8 offset1:81
	v_fma_f16 v5, v5, -0.5, v4
	v_lshrrev_b32_e32 v6, 16, v4
	v_sub_f16_e32 v7, v13, v3
	v_fma_f16 v8, v7, s1, v5
	v_fma_f16 v5, v7, s0, v5
	v_add_f16_e32 v7, v6, v13
	v_add_f16_e32 v7, v7, v3
	v_add_f16_e32 v3, v13, v3
	v_add_f16_e32 v4, v4, v1
	v_fma_f16 v3, v3, -0.5, v6
	v_sub_f16_e32 v1, v1, v2
	v_add_f16_e32 v4, v4, v2
	v_fma_f16 v2, v1, s0, v3
	v_fma_f16 v1, v1, s1, v3
	v_pack_b32_f16 v3, v4, v7
	v_pack_b32_f16 v2, v8, v2
	v_pack_b32_f16 v1, v5, v1
	ds_write2_b32 v219, v3, v2 offset1:81
	ds_write_b32 v219, v1 offset:648
	s_waitcnt lgkmcnt(0)
	s_barrier
	ds_read2_b32 v[6:7], v136 offset1:243
	ds_read_b32 v1, v129 offset:25272
	s_waitcnt lgkmcnt(1)
	v_lshrrev_b32_e32 v4, 16, v7
	s_waitcnt lgkmcnt(0)
	v_lshrrev_b32_e32 v3, 16, v1
	v_mul_f16_sdwa v2, v97, v3 dst_sel:DWORD dst_unused:UNUSED_PAD src0_sel:WORD_1 src1_sel:DWORD
	v_fma_f16 v2, v97, v1, v2
	v_mul_f16_sdwa v1, v97, v1 dst_sel:DWORD dst_unused:UNUSED_PAD src0_sel:WORD_1 src1_sel:DWORD
	v_fma_f16 v3, v97, v3, -v1
	v_mul_f16_sdwa v1, v96, v7 dst_sel:DWORD dst_unused:UNUSED_PAD src0_sel:WORD_1 src1_sel:DWORD
	v_fma_f16 v5, v96, v4, -v1
	v_mul_f16_sdwa v1, v96, v4 dst_sel:DWORD dst_unused:UNUSED_PAD src0_sel:WORD_1 src1_sel:DWORD
	v_fma_f16 v4, v96, v7, v1
	v_lshrrev_b32_e32 v1, 16, v6
	v_mul_f16_sdwa v7, v92, v1 dst_sel:DWORD dst_unused:UNUSED_PAD src0_sel:WORD_1 src1_sel:DWORD
	v_fma_f16 v15, v92, v6, v7
	v_mul_f16_sdwa v8, v92, v6 dst_sel:DWORD dst_unused:UNUSED_PAD src0_sel:WORD_1 src1_sel:DWORD
	ds_read2_b32 v[6:7], v140 offset0:8 offset1:251
	v_fma_f16 v1, v92, v1, -v8
	s_waitcnt lgkmcnt(0)
	v_lshrrev_b32_e32 v8, 16, v7
	v_mul_f16_sdwa v9, v93, v7 dst_sel:DWORD dst_unused:UNUSED_PAD src0_sel:WORD_1 src1_sel:DWORD
	v_fma_f16 v16, v93, v8, -v9
	v_mul_f16_sdwa v8, v93, v8 dst_sel:DWORD dst_unused:UNUSED_PAD src0_sel:WORD_1 src1_sel:DWORD
	v_fma_f16 v17, v93, v7, v8
	v_lshrrev_b32_e32 v7, 16, v6
	v_mul_f16_sdwa v8, v91, v7 dst_sel:DWORD dst_unused:UNUSED_PAD src0_sel:WORD_1 src1_sel:DWORD
	v_fma_f16 v18, v91, v6, v8
	v_mul_f16_sdwa v6, v91, v6 dst_sel:DWORD dst_unused:UNUSED_PAD src0_sel:WORD_1 src1_sel:DWORD
	v_fma_f16 v19, v91, v7, -v6
	ds_read2_b32 v[6:7], v147 offset0:10 offset1:253
	s_waitcnt lgkmcnt(0)
	v_lshrrev_b32_e32 v8, 16, v7
	v_mul_f16_sdwa v9, v90, v7 dst_sel:DWORD dst_unused:UNUSED_PAD src0_sel:WORD_1 src1_sel:DWORD
	v_fma_f16 v20, v90, v8, -v9
	v_mul_f16_sdwa v8, v90, v8 dst_sel:DWORD dst_unused:UNUSED_PAD src0_sel:WORD_1 src1_sel:DWORD
	v_fma_f16 v21, v90, v7, v8
	v_lshrrev_b32_e32 v7, 16, v6
	v_mul_f16_sdwa v8, v88, v7 dst_sel:DWORD dst_unused:UNUSED_PAD src0_sel:WORD_1 src1_sel:DWORD
	v_fma_f16 v22, v88, v6, v8
	v_mul_f16_sdwa v6, v88, v6 dst_sel:DWORD dst_unused:UNUSED_PAD src0_sel:WORD_1 src1_sel:DWORD
	v_fma_f16 v23, v88, v7, -v6
	ds_read2_b32 v[6:7], v152 offset0:2 offset1:245
	;; [unrolled: 12-line block ×7, first 2 shown]
	s_waitcnt lgkmcnt(0)
	v_lshrrev_b32_e32 v8, 16, v7
	v_mul_f16_sdwa v11, v52, v7 dst_sel:DWORD dst_unused:UNUSED_PAD src0_sel:WORD_1 src1_sel:DWORD
	v_fma_f16 v11, v52, v8, -v11
	v_mul_f16_sdwa v8, v52, v8 dst_sel:DWORD dst_unused:UNUSED_PAD src0_sel:WORD_1 src1_sel:DWORD
	v_fma_f16 v12, v52, v7, v8
	ds_read2_b32 v[7:8], v129 offset1:243
	v_sub_f16_e32 v42, v11, v9
	v_sub_f16_e32 v44, v12, v10
	s_waitcnt lgkmcnt(0)
	v_lshrrev_b32_e32 v13, 16, v7
	v_add_f16_e32 v14, v13, v11
	v_add_f16_e32 v14, v14, v9
	;; [unrolled: 1-line block ×3, first 2 shown]
	v_fma_f16 v43, v9, -0.5, v13
	v_add_f16_e32 v9, v7, v12
	v_add_f16_e32 v11, v12, v10
	;; [unrolled: 1-line block ×3, first 2 shown]
	v_fma_f16 v7, v11, -0.5, v7
	v_pack_b32_f16 v45, v9, v14
	v_fma_f16 v9, v42, s1, v7
	v_fma_f16 v10, v44, s0, v43
	v_fma_f16 v7, v42, s0, v7
	v_fma_f16 v42, v44, s1, v43
	v_add_f16_e32 v43, v38, v40
	v_lshrrev_b32_e32 v44, 16, v8
	v_fma_f16 v43, v43, -0.5, v8
	v_add_f16_e32 v8, v8, v38
	v_pack_b32_f16 v7, v7, v42
	v_add_f16_e32 v42, v44, v39
	v_add_f16_e32 v8, v8, v40
	;; [unrolled: 1-line block ×3, first 2 shown]
	v_pack_b32_f16 v46, v9, v10
	v_pack_b32_f16 v8, v8, v42
	ds_read2_b32 v[9:10], v163 offset0:6 offset1:249
	ds_read2_b32 v[11:12], v154 offset0:12 offset1:255
	;; [unrolled: 1-line block ×3, first 2 shown]
	s_waitcnt lgkmcnt(0)
	s_barrier
	ds_write2_b32 v129, v45, v46 offset1:243
	ds_write2_b32 v163, v7, v8 offset0:6 offset1:249
	v_sub_f16_e32 v7, v39, v41
	v_add_f16_e32 v39, v39, v41
	v_fma_f16 v39, v39, -0.5, v44
	v_sub_f16_e32 v38, v38, v40
	v_fma_f16 v8, v7, s1, v43
	v_fma_f16 v7, v7, s0, v43
	;; [unrolled: 1-line block ×4, first 2 shown]
	v_pack_b32_f16 v8, v8, v40
	v_pack_b32_f16 v7, v7, v38
	ds_write2_b32 v154, v8, v7 offset0:12 offset1:255
	v_lshrrev_b32_e32 v7, 16, v9
	v_add_f16_e32 v8, v7, v36
	v_add_f16_e32 v8, v8, v35
	v_sub_f16_e32 v38, v36, v35
	v_add_f16_e32 v35, v36, v35
	v_fma_f16 v7, v35, -0.5, v7
	v_add_f16_e32 v35, v9, v37
	v_add_f16_e32 v36, v37, v34
	;; [unrolled: 1-line block ×3, first 2 shown]
	v_sub_f16_e32 v34, v37, v34
	v_fma_f16 v9, v36, -0.5, v9
	v_pack_b32_f16 v8, v35, v8
	v_fma_f16 v35, v38, s1, v9
	v_fma_f16 v36, v34, s0, v7
	v_pack_b32_f16 v35, v35, v36
	ds_write2_b32 v232, v8, v35 offset0:2 offset1:245
	v_lshrrev_b32_e32 v35, 16, v10
	v_add_f16_e32 v8, v30, v33
	v_add_f16_e32 v36, v35, v31
	v_sub_f16_e32 v37, v31, v32
	v_add_f16_e32 v31, v31, v32
	v_fma_f16 v8, v8, -0.5, v10
	v_add_f16_e32 v10, v10, v30
	v_fma_f16 v31, v31, -0.5, v35
	v_sub_f16_e32 v30, v30, v33
	v_add_f16_e32 v36, v36, v32
	v_add_f16_e32 v10, v10, v33
	v_fma_f16 v32, v37, s1, v8
	v_fma_f16 v33, v30, s0, v31
	v_pack_b32_f16 v10, v10, v36
	v_pack_b32_f16 v32, v32, v33
	ds_write2_b32 v233, v10, v32 offset0:11 offset1:254
	v_lshrrev_b32_e32 v10, 16, v11
	v_add_f16_e32 v32, v10, v28
	v_add_f16_e32 v32, v32, v27
	v_sub_f16_e32 v33, v28, v27
	v_add_f16_e32 v27, v28, v27
	v_fma_f16 v10, v27, -0.5, v10
	v_add_f16_e32 v27, v11, v29
	v_add_f16_e32 v28, v29, v26
	;; [unrolled: 1-line block ×3, first 2 shown]
	v_sub_f16_e32 v26, v29, v26
	v_fma_f16 v11, v28, -0.5, v11
	v_fma_f16 v28, v33, s1, v11
	v_fma_f16 v29, v26, s0, v10
	;; [unrolled: 1-line block ×4, first 2 shown]
	v_pack_b32_f16 v27, v27, v32
	v_pack_b32_f16 v28, v28, v29
	;; [unrolled: 1-line block ×3, first 2 shown]
	v_fma_f16 v9, v33, s0, v11
	v_add_f16_e32 v11, v22, v25
	ds_write2_b32 v169, v27, v28 offset0:4 offset1:247
	v_fma_f16 v10, v26, s1, v10
	v_fma_f16 v11, v11, -0.5, v12
	v_lshrrev_b32_e32 v26, 16, v12
	v_sub_f16_e32 v27, v23, v24
	v_fma_f16 v28, v27, s1, v11
	v_fma_f16 v11, v27, s0, v11
	v_add_f16_e32 v27, v26, v23
	v_add_f16_e32 v23, v23, v24
	;; [unrolled: 1-line block ×3, first 2 shown]
	v_fma_f16 v23, v23, -0.5, v26
	v_sub_f16_e32 v22, v22, v25
	v_add_f16_e32 v27, v27, v24
	v_fma_f16 v24, v22, s0, v23
	v_fma_f16 v22, v22, s1, v23
	v_add_f16_e32 v23, v21, v18
	v_add_f16_e32 v12, v12, v25
	v_fma_f16 v23, v23, -0.5, v13
	v_sub_f16_e32 v25, v20, v19
	v_fma_f16 v26, v25, s1, v23
	v_fma_f16 v23, v25, s0, v23
	v_lshrrev_b32_e32 v25, 16, v13
	v_add_f16_e32 v29, v25, v20
	v_add_f16_e32 v29, v29, v19
	;; [unrolled: 1-line block ×4, first 2 shown]
	v_fma_f16 v19, v19, -0.5, v25
	v_add_f16_e32 v13, v13, v18
	v_sub_f16_e32 v18, v21, v18
	v_fma_f16 v20, v18, s0, v19
	v_fma_f16 v18, v18, s1, v19
	v_add_f16_e32 v19, v15, v17
	v_fma_f16 v19, v19, -0.5, v14
	v_lshrrev_b32_e32 v21, 16, v14
	v_sub_f16_e32 v25, v1, v16
	ds_write_b32 v222, v7 offset:7776
	v_fma_f16 v7, v37, s0, v8
	v_fma_f16 v8, v30, s1, v31
	;; [unrolled: 1-line block ×4, first 2 shown]
	v_add_f16_e32 v25, v21, v1
	v_add_f16_e32 v1, v1, v16
	;; [unrolled: 1-line block ×3, first 2 shown]
	v_fma_f16 v1, v1, -0.5, v21
	v_sub_f16_e32 v15, v15, v17
	v_add_f16_e32 v25, v25, v16
	v_fma_f16 v16, v15, s0, v1
	v_fma_f16 v1, v15, s1, v1
	v_add_f16_e32 v15, v4, v2
	v_add_f16_e32 v14, v14, v17
	v_fma_f16 v15, v15, -0.5, v6
	v_lshrrev_b32_e32 v17, 16, v6
	v_sub_f16_e32 v21, v5, v3
	v_fma_f16 v31, v21, s1, v15
	v_fma_f16 v15, v21, s0, v15
	v_add_f16_e32 v21, v17, v5
	v_add_f16_e32 v6, v6, v4
	;; [unrolled: 1-line block ×4, first 2 shown]
	v_fma_f16 v3, v3, -0.5, v17
	v_add_f16_e32 v5, v6, v2
	v_sub_f16_e32 v2, v4, v2
	v_fma_f16 v4, v2, s0, v3
	v_fma_f16 v2, v2, s1, v3
	v_pack_b32_f16 v3, v7, v8
	ds_write_b32 v220, v3 offset:10692
	v_pack_b32_f16 v3, v9, v10
	ds_write_b32 v221, v3 offset:13608
	v_pack_b32_f16 v3, v12, v27
	v_pack_b32_f16 v6, v28, v24
	ds_write2_b32 v224, v3, v6 offset0:5 offset1:248
	v_pack_b32_f16 v3, v11, v22
	ds_write_b32 v223, v3 offset:16524
	v_pack_b32_f16 v3, v13, v29
	v_pack_b32_f16 v6, v26, v20
	ds_write2_b32 v227, v3, v6 offset0:6 offset1:249
	v_pack_b32_f16 v3, v23, v18
	ds_write_b32 v225, v3 offset:19440
	v_pack_b32_f16 v3, v14, v25
	v_pack_b32_f16 v6, v30, v16
	;; [unrolled: 1-line block ×3, first 2 shown]
	ds_write2_b32 v229, v3, v6 offset0:7 offset1:250
	ds_write_b32 v228, v1 offset:22356
	v_pack_b32_f16 v1, v5, v21
	v_pack_b32_f16 v3, v31, v4
	ds_write2_b32 v231, v1, v3 offset0:8 offset1:251
	v_pack_b32_f16 v1, v15, v2
	ds_write_b32 v230, v1 offset:25272
	s_waitcnt lgkmcnt(0)
	s_barrier
	ds_read2_b32 v[2:3], v129 offset1:243
	ds_read2_b32 v[4:5], v170 offset0:8 offset1:251
	ds_read2_b32 v[6:7], v167 offset0:6 offset1:249
	;; [unrolled: 1-line block ×5, first 2 shown]
	s_waitcnt lgkmcnt(4)
	v_lshrrev_b32_e32 v20, 16, v5
	s_waitcnt lgkmcnt(3)
	v_lshrrev_b32_e32 v21, 16, v6
	v_mul_f16_sdwa v36, v77, v21 dst_sel:DWORD dst_unused:UNUSED_PAD src0_sel:WORD_1 src1_sel:DWORD
	v_lshrrev_b32_e32 v24, 16, v7
	v_fma_f16 v36, v77, v6, v36
	v_mul_f16_sdwa v6, v77, v6 dst_sel:DWORD dst_unused:UNUSED_PAD src0_sel:WORD_1 src1_sel:DWORD
	v_fma_f16 v21, v77, v21, -v6
	v_mul_f16_sdwa v6, v79, v24 dst_sel:DWORD dst_unused:UNUSED_PAD src0_sel:WORD_1 src1_sel:DWORD
	s_waitcnt lgkmcnt(2)
	v_lshrrev_b32_e32 v26, 16, v9
	v_fma_f16 v37, v79, v7, v6
	v_mul_f16_sdwa v6, v79, v7 dst_sel:DWORD dst_unused:UNUSED_PAD src0_sel:WORD_1 src1_sel:DWORD
	v_fma_f16 v24, v79, v24, -v6
	v_mul_f16_sdwa v6, v102, v26 dst_sel:DWORD dst_unused:UNUSED_PAD src0_sel:WORD_1 src1_sel:DWORD
	s_waitcnt lgkmcnt(1)
	v_lshrrev_b32_e32 v27, 16, v12
	v_fma_f16 v39, v102, v9, v6
	v_mul_f16_sdwa v6, v102, v9 dst_sel:DWORD dst_unused:UNUSED_PAD src0_sel:WORD_1 src1_sel:DWORD
	v_lshrrev_b32_e32 v23, 16, v8
	v_mul_f16_sdwa v7, v78, v8 dst_sel:DWORD dst_unused:UNUSED_PAD src0_sel:WORD_1 src1_sel:DWORD
	v_fma_f16 v9, v102, v26, -v6
	v_mul_f16_sdwa v6, v103, v27 dst_sel:DWORD dst_unused:UNUSED_PAD src0_sel:WORD_1 src1_sel:DWORD
	v_lshrrev_b32_e32 v30, 16, v13
	v_fma_f16 v38, v78, v23, -v7
	v_mul_f16_sdwa v7, v78, v23 dst_sel:DWORD dst_unused:UNUSED_PAD src0_sel:WORD_1 src1_sel:DWORD
	v_fma_f16 v26, v103, v12, v6
	v_mul_f16_sdwa v6, v103, v12 dst_sel:DWORD dst_unused:UNUSED_PAD src0_sel:WORD_1 src1_sel:DWORD
	v_fma_f16 v23, v78, v8, v7
	v_fma_f16 v12, v103, v27, -v6
	v_mul_f16_sdwa v6, v77, v30 dst_sel:DWORD dst_unused:UNUSED_PAD src0_sel:WORD_1 src1_sel:DWORD
	v_mul_f16_sdwa v7, v76, v5 dst_sel:DWORD dst_unused:UNUSED_PAD src0_sel:WORD_1 src1_sel:DWORD
	ds_read2_b32 v[10:11], v163 offset0:6 offset1:249
	ds_read2_b32 v[16:17], v152 offset0:2 offset1:245
	;; [unrolled: 1-line block ×3, first 2 shown]
	v_fma_f16 v27, v77, v13, v6
	v_mul_f16_sdwa v6, v77, v13 dst_sel:DWORD dst_unused:UNUSED_PAD src0_sel:WORD_1 src1_sel:DWORD
	v_fma_f16 v13, v76, v20, -v7
	v_mul_f16_sdwa v7, v76, v20 dst_sel:DWORD dst_unused:UNUSED_PAD src0_sel:WORD_1 src1_sel:DWORD
	s_waitcnt lgkmcnt(3)
	v_lshrrev_b32_e32 v29, 16, v14
	v_fma_f16 v20, v76, v5, v7
	v_mul_f16_sdwa v5, v76, v14 dst_sel:DWORD dst_unused:UNUSED_PAD src0_sel:WORD_1 src1_sel:DWORD
	v_lshrrev_b32_e32 v31, 16, v15
	v_fma_f16 v40, v76, v29, -v5
	v_mul_f16_sdwa v5, v76, v29 dst_sel:DWORD dst_unused:UNUSED_PAD src0_sel:WORD_1 src1_sel:DWORD
	v_fma_f16 v14, v76, v14, v5
	v_mul_f16_sdwa v5, v78, v31 dst_sel:DWORD dst_unused:UNUSED_PAD src0_sel:WORD_1 src1_sel:DWORD
	v_mul_f16_sdwa v7, v78, v15 dst_sel:DWORD dst_unused:UNUSED_PAD src0_sel:WORD_1 src1_sel:DWORD
	s_waitcnt lgkmcnt(1)
	v_lshrrev_b32_e32 v32, 16, v16
	v_fma_f16 v29, v78, v15, v5
	v_fma_f16 v15, v78, v31, -v7
	v_mul_f16_sdwa v7, v79, v16 dst_sel:DWORD dst_unused:UNUSED_PAD src0_sel:WORD_1 src1_sel:DWORD
	v_lshrrev_b32_e32 v34, 16, v17
	v_fma_f16 v30, v77, v30, -v6
	ds_read2_b32 v[5:6], v140 offset0:8 offset1:251
	v_fma_f16 v31, v79, v32, -v7
	v_mul_f16_sdwa v7, v79, v32 dst_sel:DWORD dst_unused:UNUSED_PAD src0_sel:WORD_1 src1_sel:DWORD
	v_fma_f16 v16, v79, v16, v7
	v_mul_f16_sdwa v7, v103, v34 dst_sel:DWORD dst_unused:UNUSED_PAD src0_sel:WORD_1 src1_sel:DWORD
	s_waitcnt lgkmcnt(1)
	v_lshrrev_b32_e32 v35, 16, v19
	v_fma_f16 v32, v103, v17, v7
	v_mul_f16_sdwa v17, v103, v17 dst_sel:DWORD dst_unused:UNUSED_PAD src0_sel:WORD_1 src1_sel:DWORD
	v_lshrrev_b32_e32 v33, 16, v18
	v_fma_f16 v17, v103, v34, -v17
	v_mul_f16_sdwa v34, v102, v18 dst_sel:DWORD dst_unused:UNUSED_PAD src0_sel:WORD_1 src1_sel:DWORD
	v_mul_f16_sdwa v41, v100, v35 dst_sel:DWORD dst_unused:UNUSED_PAD src0_sel:WORD_1 src1_sel:DWORD
	v_fma_f16 v34, v102, v33, -v34
	v_mul_f16_sdwa v33, v102, v33 dst_sel:DWORD dst_unused:UNUSED_PAD src0_sel:WORD_1 src1_sel:DWORD
	v_fma_f16 v41, v100, v19, v41
	v_mul_f16_sdwa v19, v100, v19 dst_sel:DWORD dst_unused:UNUSED_PAD src0_sel:WORD_1 src1_sel:DWORD
	ds_read2_b32 v[7:8], v136 offset1:243
	v_fma_f16 v18, v102, v18, v33
	s_waitcnt lgkmcnt(1)
	v_lshrrev_b32_e32 v33, 16, v5
	v_fma_f16 v19, v100, v35, -v19
	v_mul_f16_sdwa v35, v101, v5 dst_sel:DWORD dst_unused:UNUSED_PAD src0_sel:WORD_1 src1_sel:DWORD
	v_fma_f16 v35, v101, v33, -v35
	v_mul_f16_sdwa v33, v101, v33 dst_sel:DWORD dst_unused:UNUSED_PAD src0_sel:WORD_1 src1_sel:DWORD
	v_fma_f16 v5, v101, v5, v33
	v_lshrrev_b32_e32 v33, 16, v6
	v_mul_f16_sdwa v43, v99, v33 dst_sel:DWORD dst_unused:UNUSED_PAD src0_sel:WORD_1 src1_sel:DWORD
	v_fma_f16 v43, v99, v6, v43
	v_mul_f16_sdwa v6, v99, v6 dst_sel:DWORD dst_unused:UNUSED_PAD src0_sel:WORD_1 src1_sel:DWORD
	ds_read_b32 v44, v129 offset:25272
	s_waitcnt lgkmcnt(1)
	v_lshrrev_b32_e32 v42, 16, v7
	v_fma_f16 v6, v99, v33, -v6
	v_mul_f16_sdwa v33, v98, v7 dst_sel:DWORD dst_unused:UNUSED_PAD src0_sel:WORD_1 src1_sel:DWORD
	v_fma_f16 v33, v98, v42, -v33
	v_mul_f16_sdwa v42, v98, v42 dst_sel:DWORD dst_unused:UNUSED_PAD src0_sel:WORD_1 src1_sel:DWORD
	v_fma_f16 v7, v98, v7, v42
	v_lshrrev_b32_e32 v42, 16, v8
	v_mul_f16_sdwa v45, v94, v42 dst_sel:DWORD dst_unused:UNUSED_PAD src0_sel:WORD_1 src1_sel:DWORD
	v_fma_f16 v45, v94, v8, v45
	v_mul_f16_sdwa v8, v94, v8 dst_sel:DWORD dst_unused:UNUSED_PAD src0_sel:WORD_1 src1_sel:DWORD
	s_waitcnt lgkmcnt(0)
	v_lshrrev_b32_e32 v46, 16, v44
	v_fma_f16 v8, v94, v42, -v8
	v_mul_f16_sdwa v42, v95, v46 dst_sel:DWORD dst_unused:UNUSED_PAD src0_sel:WORD_1 src1_sel:DWORD
	v_fma_f16 v42, v95, v44, v42
	v_mul_f16_sdwa v44, v95, v44 dst_sel:DWORD dst_unused:UNUSED_PAD src0_sel:WORD_1 src1_sel:DWORD
	v_fma_f16 v44, v95, v46, -v44
	v_add_f16_e32 v46, v20, v36
	v_lshrrev_b32_e32 v1, 16, v2
	v_fma_f16 v46, v46, -0.5, v2
	v_sub_f16_e32 v47, v13, v21
	v_fma_f16 v48, v47, s1, v46
	v_fma_f16 v46, v47, s0, v46
	v_add_f16_e32 v47, v1, v13
	v_add_f16_e32 v13, v13, v21
	;; [unrolled: 1-line block ×5, first 2 shown]
	v_fma_f16 v1, v13, -0.5, v1
	v_sub_f16_e32 v2, v20, v36
	v_fma_f16 v13, v2, s0, v1
	v_fma_f16 v1, v2, s1, v1
	v_add_f16_e32 v2, v3, v23
	v_add_f16_e32 v20, v2, v37
	;; [unrolled: 1-line block ×3, first 2 shown]
	v_lshrrev_b32_e32 v22, 16, v3
	v_fma_f16 v2, v2, -0.5, v3
	v_sub_f16_e32 v3, v38, v24
	v_fma_f16 v36, v3, s1, v2
	v_fma_f16 v49, v3, s0, v2
	v_add_f16_e32 v2, v22, v38
	v_add_f16_e32 v50, v2, v24
	v_add_f16_e32 v2, v38, v24
	v_fma_f16 v2, v2, -0.5, v22
	v_sub_f16_e32 v3, v23, v37
	v_fma_f16 v22, v3, s0, v2
	v_fma_f16 v23, v3, s1, v2
	v_add_f16_e32 v2, v39, v26
	v_lshrrev_b32_e32 v25, 16, v10
	v_fma_f16 v2, v2, -0.5, v10
	v_sub_f16_e32 v3, v9, v12
	v_fma_f16 v24, v3, s1, v2
	v_fma_f16 v37, v3, s0, v2
	v_add_f16_e32 v2, v25, v9
	v_add_f16_e32 v38, v2, v12
	;; [unrolled: 1-line block ×5, first 2 shown]
	v_fma_f16 v2, v2, -0.5, v25
	v_sub_f16_e32 v3, v39, v26
	v_fma_f16 v10, v3, s0, v2
	v_fma_f16 v12, v3, s1, v2
	v_add_f16_e32 v2, v14, v27
	v_lshrrev_b32_e32 v28, 16, v11
	v_fma_f16 v2, v2, -0.5, v11
	v_sub_f16_e32 v3, v40, v30
	v_add_f16_e32 v25, v11, v14
	v_fma_f16 v11, v3, s1, v2
	v_fma_f16 v26, v3, s0, v2
	v_add_f16_e32 v2, v28, v40
	v_add_f16_e32 v39, v2, v30
	;; [unrolled: 1-line block ×3, first 2 shown]
	v_fma_f16 v28, v2, -0.5, v28
	ds_read2_b32 v[2:3], v154 offset0:12 offset1:255
	v_sub_f16_e32 v14, v14, v27
	v_add_f16_e32 v25, v25, v27
	v_fma_f16 v27, v14, s0, v28
	v_fma_f16 v14, v14, s1, v28
	v_add_f16_e32 v28, v29, v16
	s_waitcnt lgkmcnt(0)
	v_fma_f16 v28, v28, -0.5, v2
	v_sub_f16_e32 v30, v15, v31
	v_fma_f16 v40, v30, s1, v28
	v_fma_f16 v28, v30, s0, v28
	v_lshrrev_b32_e32 v30, 16, v2
	v_add_f16_e32 v51, v30, v15
	v_add_f16_e32 v15, v15, v31
	;; [unrolled: 1-line block ×3, first 2 shown]
	v_fma_f16 v15, v15, -0.5, v30
	v_add_f16_e32 v30, v2, v16
	v_sub_f16_e32 v2, v29, v16
	v_fma_f16 v16, v2, s0, v15
	v_fma_f16 v15, v2, s1, v15
	v_add_f16_e32 v2, v18, v32
	v_add_f16_e32 v51, v51, v31
	v_fma_f16 v2, v2, -0.5, v3
	v_lshrrev_b32_e32 v29, 16, v3
	v_sub_f16_e32 v31, v34, v17
	v_fma_f16 v52, v31, s1, v2
	v_fma_f16 v31, v31, s0, v2
	v_add_f16_e32 v2, v29, v34
	v_add_f16_e32 v3, v3, v18
	;; [unrolled: 1-line block ×4, first 2 shown]
	v_fma_f16 v2, v2, -0.5, v29
	v_add_f16_e32 v17, v3, v32
	v_sub_f16_e32 v3, v18, v32
	v_fma_f16 v18, v3, s0, v2
	v_fma_f16 v29, v3, s1, v2
	ds_read2_b32 v[2:3], v142 offset0:2 offset1:245
	v_add_f16_e32 v32, v41, v5
	v_pack_b32_f16 v1, v46, v1
	v_sub_f16_e32 v34, v19, v35
	v_pack_b32_f16 v21, v21, v47
	s_waitcnt lgkmcnt(0)
	v_fma_f16 v32, v32, -0.5, v2
	v_pack_b32_f16 v13, v48, v13
	s_barrier
	ds_write_b32 v129, v1 offset:5832
	v_pack_b32_f16 v1, v20, v50
	v_pack_b32_f16 v9, v9, v38
	v_fma_f16 v54, v34, s1, v32
	v_fma_f16 v32, v34, s0, v32
	v_lshrrev_b32_e32 v34, 16, v2
	ds_write_b32 v129, v13 offset:2916
	ds_write2_b32 v129, v21, v1 offset1:243
	v_pack_b32_f16 v1, v36, v22
	v_pack_b32_f16 v13, v49, v23
	ds_write_b32 v129, v9 offset:1944
	v_pack_b32_f16 v9, v24, v10
	v_add_f16_e32 v55, v34, v19
	v_add_f16_e32 v19, v19, v35
	;; [unrolled: 1-line block ×3, first 2 shown]
	ds_write_b32 v129, v13 offset:6804
	ds_write2_b32 v154, v1, v9 offset0:12 offset1:255
	v_pack_b32_f16 v1, v37, v12
	v_pack_b32_f16 v9, v25, v39
	v_fma_f16 v19, v19, -0.5, v34
	v_add_f16_e32 v2, v2, v5
	v_sub_f16_e32 v5, v41, v5
	ds_write2_b32 v170, v1, v9 offset0:8 offset1:251
	v_pack_b32_f16 v1, v11, v27
	v_pack_b32_f16 v11, v40, v16
	v_fma_f16 v34, v5, s0, v19
	v_fma_f16 v5, v5, s1, v19
	v_add_f16_e32 v19, v7, v43
	v_pack_b32_f16 v10, v30, v51
	ds_write2_b32 v157, v1, v11 offset0:4 offset1:247
	v_pack_b32_f16 v11, v17, v53
	v_add_f16_e32 v55, v55, v35
	v_fma_f16 v19, v19, -0.5, v3
	v_lshrrev_b32_e32 v35, 16, v3
	v_sub_f16_e32 v41, v33, v6
	v_pack_b32_f16 v9, v26, v14
	ds_write2_b32 v166, v10, v11 offset0:6 offset1:249
	v_pack_b32_f16 v10, v52, v18
	v_fma_f16 v56, v41, s1, v19
	v_fma_f16 v19, v41, s0, v19
	v_add_f16_e32 v41, v35, v33
	v_pack_b32_f16 v1, v28, v15
	ds_write2_b32 v147, v10, v9 offset0:10 offset1:253
	v_pack_b32_f16 v9, v31, v29
	v_add_f16_e32 v41, v41, v6
	v_add_f16_e32 v6, v33, v6
	ds_write2_b32 v136, v1, v9 offset1:243
	v_pack_b32_f16 v1, v2, v55
	v_add_f16_e32 v3, v3, v7
	v_fma_f16 v6, v6, -0.5, v35
	v_sub_f16_e32 v7, v7, v43
	ds_write_b32 v236, v1 offset:17496
	v_pack_b32_f16 v1, v54, v34
	v_add_f16_e32 v3, v3, v43
	v_fma_f16 v33, v7, s0, v6
	v_fma_f16 v6, v7, s1, v6
	v_add_f16_e32 v7, v45, v42
	ds_write_b32 v236, v1 offset:20412
	v_pack_b32_f16 v1, v32, v5
	v_fma_f16 v7, v7, -0.5, v4
	v_lshrrev_b32_e32 v35, 16, v4
	v_sub_f16_e32 v43, v8, v44
	ds_write_b32 v236, v1 offset:23328
	v_pack_b32_f16 v1, v3, v41
	v_add_f16_e32 v4, v4, v45
	v_fma_f16 v57, v43, s1, v7
	v_fma_f16 v7, v43, s0, v7
	v_add_f16_e32 v43, v35, v8
	v_add_f16_e32 v8, v8, v44
	ds_write_b32 v237, v1 offset:17496
	v_pack_b32_f16 v1, v56, v33
	v_add_f16_e32 v43, v43, v44
	v_fma_f16 v8, v8, -0.5, v35
	v_add_f16_e32 v4, v4, v42
	v_sub_f16_e32 v35, v45, v42
	ds_write_b32 v237, v1 offset:20412
	v_pack_b32_f16 v1, v19, v6
	v_fma_f16 v42, v35, s0, v8
	ds_write_b32 v237, v1 offset:23328
	v_pack_b32_f16 v1, v4, v43
	v_fma_f16 v8, v35, s1, v8
	ds_write_b32 v238, v1 offset:17496
	v_pack_b32_f16 v1, v57, v42
	ds_write_b32 v238, v1 offset:20412
	v_pack_b32_f16 v1, v7, v8
	ds_write_b32 v238, v1 offset:23328
	s_waitcnt lgkmcnt(0)
	s_barrier
	ds_read2_b32 v[2:3], v129 offset1:243
	ds_read2_b32 v[4:5], v170 offset0:8 offset1:251
	ds_read2_b32 v[6:7], v167 offset0:6 offset1:249
	;; [unrolled: 1-line block ×7, first 2 shown]
	s_waitcnt lgkmcnt(4)
	v_lshrrev_b32_e32 v34, 16, v9
	v_mul_f16_sdwa v54, v108, v34 dst_sel:DWORD dst_unused:UNUSED_PAD src0_sel:WORD_1 src1_sel:DWORD
	v_fma_f16 v54, v108, v9, v54
	v_mul_f16_sdwa v9, v108, v9 dst_sel:DWORD dst_unused:UNUSED_PAD src0_sel:WORD_1 src1_sel:DWORD
	s_waitcnt lgkmcnt(3)
	v_lshrrev_b32_e32 v35, 16, v12
	v_fma_f16 v9, v108, v34, -v9
	v_mul_f16_sdwa v34, v109, v12 dst_sel:DWORD dst_unused:UNUSED_PAD src0_sel:WORD_1 src1_sel:DWORD
	s_waitcnt lgkmcnt(2)
	v_lshrrev_b32_e32 v37, 16, v14
	v_fma_f16 v34, v109, v35, -v34
	v_mul_f16_sdwa v35, v109, v35 dst_sel:DWORD dst_unused:UNUSED_PAD src0_sel:WORD_1 src1_sel:DWORD
	v_fma_f16 v12, v109, v12, v35
	v_mul_f16_sdwa v35, v110, v37 dst_sel:DWORD dst_unused:UNUSED_PAD src0_sel:WORD_1 src1_sel:DWORD
	v_lshrrev_b32_e32 v38, 16, v13
	v_fma_f16 v35, v110, v14, v35
	v_mul_f16_sdwa v14, v110, v14 dst_sel:DWORD dst_unused:UNUSED_PAD src0_sel:WORD_1 src1_sel:DWORD
	v_fma_f16 v14, v110, v37, -v14
	v_mul_f16_sdwa v37, v111, v38 dst_sel:DWORD dst_unused:UNUSED_PAD src0_sel:WORD_1 src1_sel:DWORD
	v_lshrrev_b32_e32 v40, 16, v15
	v_fma_f16 v37, v111, v13, v37
	v_mul_f16_sdwa v13, v111, v13 dst_sel:DWORD dst_unused:UNUSED_PAD src0_sel:WORD_1 src1_sel:DWORD
	v_fma_f16 v13, v111, v38, -v13
	v_mul_f16_sdwa v38, v112, v40 dst_sel:DWORD dst_unused:UNUSED_PAD src0_sel:WORD_1 src1_sel:DWORD
	s_waitcnt lgkmcnt(1)
	v_lshrrev_b32_e32 v41, 16, v18
	v_fma_f16 v38, v112, v15, v38
	v_mul_f16_sdwa v15, v112, v15 dst_sel:DWORD dst_unused:UNUSED_PAD src0_sel:WORD_1 src1_sel:DWORD
	v_fma_f16 v15, v112, v40, -v15
	v_mul_f16_sdwa v40, v113, v41 dst_sel:DWORD dst_unused:UNUSED_PAD src0_sel:WORD_1 src1_sel:DWORD
	s_waitcnt lgkmcnt(0)
	v_lshrrev_b32_e32 v43, 16, v20
	v_fma_f16 v40, v113, v18, v40
	v_mul_f16_sdwa v18, v113, v18 dst_sel:DWORD dst_unused:UNUSED_PAD src0_sel:WORD_1 src1_sel:DWORD
	ds_read2_b32 v[24:25], v140 offset0:8 offset1:251
	v_fma_f16 v18, v113, v41, -v18
	v_mul_f16_sdwa v41, v114, v43 dst_sel:DWORD dst_unused:UNUSED_PAD src0_sel:WORD_1 src1_sel:DWORD
	v_lshrrev_b32_e32 v44, 16, v19
	v_fma_f16 v41, v114, v20, v41
	v_mul_f16_sdwa v20, v114, v20 dst_sel:DWORD dst_unused:UNUSED_PAD src0_sel:WORD_1 src1_sel:DWORD
	ds_read2_b32 v[26:27], v136 offset1:243
	v_fma_f16 v20, v114, v43, -v20
	v_mul_f16_sdwa v43, v115, v44 dst_sel:DWORD dst_unused:UNUSED_PAD src0_sel:WORD_1 src1_sel:DWORD
	v_lshrrev_b32_e32 v46, 16, v21
	v_fma_f16 v43, v115, v19, v43
	v_mul_f16_sdwa v19, v115, v19 dst_sel:DWORD dst_unused:UNUSED_PAD src0_sel:WORD_1 src1_sel:DWORD
	v_lshrrev_b32_e32 v28, 16, v5
	v_fma_f16 v19, v115, v44, -v19
	v_mul_f16_sdwa v44, v116, v46 dst_sel:DWORD dst_unused:UNUSED_PAD src0_sel:WORD_1 src1_sel:DWORD
	s_waitcnt lgkmcnt(1)
	v_lshrrev_b32_e32 v47, 16, v24
	v_mul_f16_sdwa v51, v106, v28 dst_sel:DWORD dst_unused:UNUSED_PAD src0_sel:WORD_1 src1_sel:DWORD
	v_fma_f16 v44, v116, v21, v44
	v_mul_f16_sdwa v21, v116, v21 dst_sel:DWORD dst_unused:UNUSED_PAD src0_sel:WORD_1 src1_sel:DWORD
	v_lshrrev_b32_e32 v32, 16, v7
	v_fma_f16 v51, v106, v5, v51
	v_mul_f16_sdwa v5, v106, v5 dst_sel:DWORD dst_unused:UNUSED_PAD src0_sel:WORD_1 src1_sel:DWORD
	v_fma_f16 v21, v116, v46, -v21
	v_mul_f16_sdwa v46, v117, v47 dst_sel:DWORD dst_unused:UNUSED_PAD src0_sel:WORD_1 src1_sel:DWORD
	v_lshrrev_b32_e32 v29, 16, v6
	s_waitcnt lgkmcnt(0)
	v_lshrrev_b32_e32 v50, 16, v26
	v_fma_f16 v5, v106, v28, -v5
	v_mul_f16_sdwa v28, v107, v6 dst_sel:DWORD dst_unused:UNUSED_PAD src0_sel:WORD_1 src1_sel:DWORD
	v_mul_f16_sdwa v52, v105, v32 dst_sel:DWORD dst_unused:UNUSED_PAD src0_sel:WORD_1 src1_sel:DWORD
	v_fma_f16 v46, v117, v24, v46
	v_mul_f16_sdwa v24, v117, v24 dst_sel:DWORD dst_unused:UNUSED_PAD src0_sel:WORD_1 src1_sel:DWORD
	ds_read_b32 v49, v129 offset:25272
	v_fma_f16 v28, v107, v29, -v28
	v_mul_f16_sdwa v29, v107, v29 dst_sel:DWORD dst_unused:UNUSED_PAD src0_sel:WORD_1 src1_sel:DWORD
	v_fma_f16 v52, v105, v7, v52
	v_mul_f16_sdwa v7, v105, v7 dst_sel:DWORD dst_unused:UNUSED_PAD src0_sel:WORD_1 src1_sel:DWORD
	v_fma_f16 v24, v117, v47, -v24
	v_mul_f16_sdwa v47, v118, v50 dst_sel:DWORD dst_unused:UNUSED_PAD src0_sel:WORD_1 src1_sel:DWORD
	v_lshrrev_b32_e32 v31, 16, v8
	v_fma_f16 v6, v107, v6, v29
	v_lshrrev_b32_e32 v29, 16, v25
	v_fma_f16 v7, v105, v32, -v7
	v_mul_f16_sdwa v32, v104, v8 dst_sel:DWORD dst_unused:UNUSED_PAD src0_sel:WORD_1 src1_sel:DWORD
	v_fma_f16 v47, v118, v26, v47
	v_mul_f16_sdwa v26, v118, v26 dst_sel:DWORD dst_unused:UNUSED_PAD src0_sel:WORD_1 src1_sel:DWORD
	v_fma_f16 v32, v104, v31, -v32
	v_mul_f16_sdwa v31, v104, v31 dst_sel:DWORD dst_unused:UNUSED_PAD src0_sel:WORD_1 src1_sel:DWORD
	v_fma_f16 v26, v118, v50, -v26
	v_mul_f16_sdwa v50, v119, v29 dst_sel:DWORD dst_unused:UNUSED_PAD src0_sel:WORD_1 src1_sel:DWORD
	v_fma_f16 v8, v104, v8, v31
	v_lshrrev_b32_e32 v31, 16, v27
	v_fma_f16 v50, v119, v25, v50
	v_mul_f16_sdwa v25, v119, v25 dst_sel:DWORD dst_unused:UNUSED_PAD src0_sel:WORD_1 src1_sel:DWORD
	v_fma_f16 v25, v119, v29, -v25
	v_mul_f16_sdwa v29, v120, v31 dst_sel:DWORD dst_unused:UNUSED_PAD src0_sel:WORD_1 src1_sel:DWORD
	s_waitcnt lgkmcnt(0)
	v_lshrrev_b32_e32 v55, 16, v49
	v_fma_f16 v29, v120, v27, v29
	v_mul_f16_sdwa v27, v120, v27 dst_sel:DWORD dst_unused:UNUSED_PAD src0_sel:WORD_1 src1_sel:DWORD
	v_fma_f16 v27, v120, v31, -v27
	v_mul_f16_sdwa v31, v121, v55 dst_sel:DWORD dst_unused:UNUSED_PAD src0_sel:WORD_1 src1_sel:DWORD
	v_fma_f16 v31, v121, v49, v31
	v_mul_f16_sdwa v49, v121, v49 dst_sel:DWORD dst_unused:UNUSED_PAD src0_sel:WORD_1 src1_sel:DWORD
	v_add_f16_e32 v56, v51, v6
	v_lshrrev_b32_e32 v1, 16, v2
	v_fma_f16 v49, v121, v55, -v49
	v_add_f16_e32 v55, v2, v51
	v_fma_f16 v2, v56, -0.5, v2
	v_sub_f16_e32 v56, v5, v28
	v_fma_f16 v57, v56, s1, v2
	v_fma_f16 v2, v56, s0, v2
	v_add_f16_e32 v56, v1, v5
	v_add_f16_e32 v5, v5, v28
	ds_read2_b32 v[10:11], v163 offset0:6 offset1:249
	v_add_f16_e32 v56, v56, v28
	v_fma_f16 v1, v5, -0.5, v1
	v_sub_f16_e32 v5, v51, v6
	v_add_f16_e32 v28, v8, v52
	v_lshrrev_b32_e32 v30, 16, v3
	v_add_f16_e32 v55, v55, v6
	v_fma_f16 v6, v5, s0, v1
	v_fma_f16 v1, v5, s1, v1
	v_add_f16_e32 v5, v3, v8
	v_fma_f16 v3, v28, -0.5, v3
	v_sub_f16_e32 v28, v32, v7
	v_fma_f16 v51, v28, s1, v3
	v_fma_f16 v3, v28, s0, v3
	v_add_f16_e32 v28, v30, v32
	v_add_f16_e32 v28, v28, v7
	v_add_f16_e32 v7, v32, v7
	v_fma_f16 v7, v7, -0.5, v30
	v_sub_f16_e32 v8, v8, v52
	v_add_f16_e32 v32, v54, v12
	s_waitcnt lgkmcnt(0)
	v_lshrrev_b32_e32 v33, 16, v10
	v_fma_f16 v30, v8, s0, v7
	v_fma_f16 v7, v8, s1, v7
	v_add_f16_e32 v8, v10, v54
	v_fma_f16 v10, v32, -0.5, v10
	v_sub_f16_e32 v32, v9, v34
	v_add_f16_e32 v5, v5, v52
	v_fma_f16 v52, v32, s1, v10
	v_fma_f16 v10, v32, s0, v10
	v_add_f16_e32 v32, v33, v9
	v_add_f16_e32 v9, v9, v34
	ds_read2_b32 v[16:17], v154 offset0:12 offset1:255
	v_add_f16_e32 v8, v8, v12
	v_add_f16_e32 v32, v32, v34
	v_fma_f16 v9, v9, -0.5, v33
	v_sub_f16_e32 v12, v54, v12
	v_add_f16_e32 v34, v35, v37
	v_lshrrev_b32_e32 v36, 16, v11
	v_fma_f16 v33, v12, s0, v9
	v_fma_f16 v9, v12, s1, v9
	v_add_f16_e32 v12, v11, v35
	v_fma_f16 v11, v34, -0.5, v11
	v_sub_f16_e32 v34, v14, v13
	v_fma_f16 v54, v34, s1, v11
	v_fma_f16 v11, v34, s0, v11
	v_add_f16_e32 v34, v36, v14
	v_add_f16_e32 v34, v34, v13
	;; [unrolled: 1-line block ×3, first 2 shown]
	v_fma_f16 v13, v13, -0.5, v36
	v_sub_f16_e32 v14, v35, v37
	v_add_f16_e32 v36, v38, v40
	s_waitcnt lgkmcnt(0)
	v_lshrrev_b32_e32 v39, 16, v16
	v_fma_f16 v35, v14, s0, v13
	v_fma_f16 v13, v14, s1, v13
	v_add_f16_e32 v14, v16, v38
	v_fma_f16 v16, v36, -0.5, v16
	v_sub_f16_e32 v36, v15, v18
	v_add_f16_e32 v12, v12, v37
	v_fma_f16 v37, v36, s1, v16
	v_fma_f16 v16, v36, s0, v16
	v_add_f16_e32 v36, v39, v15
	v_add_f16_e32 v15, v15, v18
	ds_read2_b32 v[22:23], v142 offset0:2 offset1:245
	v_add_f16_e32 v36, v36, v18
	v_fma_f16 v15, v15, -0.5, v39
	v_sub_f16_e32 v18, v38, v40
	v_add_f16_e32 v39, v41, v43
	v_lshrrev_b32_e32 v42, 16, v17
	v_fma_f16 v38, v18, s0, v15
	v_fma_f16 v15, v18, s1, v15
	v_add_f16_e32 v18, v17, v41
	v_fma_f16 v17, v39, -0.5, v17
	v_sub_f16_e32 v39, v20, v19
	v_add_f16_e32 v14, v14, v40
	v_fma_f16 v40, v39, s1, v17
	v_fma_f16 v17, v39, s0, v17
	v_add_f16_e32 v39, v42, v20
	v_add_f16_e32 v39, v39, v19
	;; [unrolled: 1-line block ×3, first 2 shown]
	v_fma_f16 v19, v19, -0.5, v42
	v_sub_f16_e32 v20, v41, v43
	v_add_f16_e32 v42, v44, v46
	s_waitcnt lgkmcnt(0)
	v_lshrrev_b32_e32 v45, 16, v22
	v_fma_f16 v41, v20, s0, v19
	v_fma_f16 v19, v20, s1, v19
	v_add_f16_e32 v20, v22, v44
	v_fma_f16 v22, v42, -0.5, v22
	v_sub_f16_e32 v42, v21, v24
	v_add_f16_e32 v18, v18, v43
	v_fma_f16 v43, v42, s1, v22
	v_fma_f16 v22, v42, s0, v22
	v_add_f16_e32 v42, v45, v21
	v_add_f16_e32 v21, v21, v24
	;; [unrolled: 1-line block ×3, first 2 shown]
	v_fma_f16 v21, v21, -0.5, v45
	v_sub_f16_e32 v24, v44, v46
	v_add_f16_e32 v45, v47, v50
	v_lshrrev_b32_e32 v48, 16, v23
	v_fma_f16 v44, v24, s0, v21
	v_fma_f16 v21, v24, s1, v21
	v_add_f16_e32 v24, v23, v47
	v_fma_f16 v23, v45, -0.5, v23
	v_sub_f16_e32 v45, v26, v25
	v_add_f16_e32 v20, v20, v46
	v_fma_f16 v46, v45, s1, v23
	v_fma_f16 v23, v45, s0, v23
	v_add_f16_e32 v45, v48, v26
	v_add_f16_e32 v45, v45, v25
	;; [unrolled: 1-line block ×3, first 2 shown]
	v_fma_f16 v25, v25, -0.5, v48
	v_sub_f16_e32 v26, v47, v50
	v_add_f16_e32 v48, v29, v31
	v_lshrrev_b32_e32 v53, 16, v4
	v_fma_f16 v47, v26, s0, v25
	v_fma_f16 v25, v26, s1, v25
	v_add_f16_e32 v26, v4, v29
	v_fma_f16 v4, v48, -0.5, v4
	v_sub_f16_e32 v48, v27, v49
	v_add_f16_e32 v24, v24, v50
	v_fma_f16 v50, v48, s1, v4
	v_fma_f16 v4, v48, s0, v4
	v_add_f16_e32 v48, v53, v27
	v_add_f16_e32 v27, v27, v49
	v_fma_f16 v27, v27, -0.5, v53
	v_sub_f16_e32 v29, v29, v31
	v_pack_b32_f16 v1, v2, v1
	v_add_f16_e32 v26, v26, v31
	v_fma_f16 v31, v29, s0, v27
	v_fma_f16 v27, v29, s1, v27
	v_pack_b32_f16 v29, v55, v56
	v_pack_b32_f16 v6, v57, v6
	ds_write_b32 v129, v1 offset:17496
	v_pack_b32_f16 v1, v5, v28
	ds_write_b32 v129, v6 offset:8748
	ds_write2_b32 v129, v29, v1 offset1:243
	v_pack_b32_f16 v1, v51, v30
	v_pack_b32_f16 v5, v52, v33
	;; [unrolled: 1-line block ×3, first 2 shown]
	ds_write2_b32 v166, v1, v5 offset0:6 offset1:249
	v_pack_b32_f16 v1, v10, v9
	v_pack_b32_f16 v3, v8, v32
	ds_write2_b32 v251, v2, v1 offset0:9 offset1:252
	v_pack_b32_f16 v1, v12, v34
	ds_write2_b32 v163, v3, v1 offset0:6 offset1:249
	v_pack_b32_f16 v1, v54, v35
	v_pack_b32_f16 v5, v37, v38
	;; [unrolled: 1-line block ×3, first 2 shown]
	ds_write2_b32 v157, v1, v5 offset0:4 offset1:247
	v_pack_b32_f16 v1, v16, v15
	v_pack_b32_f16 v3, v14, v36
	ds_write2_b32 v252, v2, v1 offset0:7 offset1:250
	v_pack_b32_f16 v1, v18, v39
	ds_write2_b32 v154, v3, v1 offset0:12 offset1:255
	v_pack_b32_f16 v1, v40, v41
	v_pack_b32_f16 v5, v43, v44
	;; [unrolled: 1-line block ×3, first 2 shown]
	ds_write2_b32 v147, v1, v5 offset0:10 offset1:253
	v_pack_b32_f16 v1, v22, v21
	v_add_f16_e32 v48, v48, v49
	v_pack_b32_f16 v3, v20, v42
	ds_write2_b32 v253, v2, v1 offset0:5 offset1:248
	v_pack_b32_f16 v1, v24, v45
	ds_write2_b32 v142, v3, v1 offset0:2 offset1:245
	v_pack_b32_f16 v3, v26, v48
	v_pack_b32_f16 v1, v46, v47
	ds_write_b32 v129, v3 offset:7776
	v_pack_b32_f16 v3, v50, v31
	v_pack_b32_f16 v2, v23, v25
	ds_write2_b32 v136, v1, v3 offset1:243
	v_pack_b32_f16 v1, v4, v27
	ds_write2_b32 v254, v2, v1 offset0:11 offset1:254
	s_waitcnt lgkmcnt(0)
	s_barrier
	ds_read2_b32 v[2:3], v129 offset1:243
	s_waitcnt lgkmcnt(0)
	v_lshrrev_b32_e32 v1, 16, v2
	v_mul_f16_sdwa v4, v0, v1 dst_sel:DWORD dst_unused:UNUSED_PAD src0_sel:WORD_1 src1_sel:DWORD
	v_fma_f16 v4, v0, v2, v4
	v_cvt_f32_f16_e32 v6, v4
	v_mad_u64_u32 v[4:5], s[0:1], s10, v226, 0
	s_movk_i32 s10, 0xffe
	v_cvt_f64_f32_e32 v[6:7], v6
	v_mul_f16_sdwa v2, v0, v2 dst_sel:DWORD dst_unused:UNUSED_PAD src0_sel:WORD_1 src1_sel:DWORD
	v_fma_f16 v0, v0, v1, -v2
	v_cvt_f32_f16_e32 v0, v0
	v_mul_f64 v[6:7], v[6:7], s[2:3]
	v_mov_b32_e32 v2, 0x7c00
	v_cvt_f64_f32_e32 v[0:1], v0
	v_mad_u64_u32 v[8:9], s[0:1], s11, v226, v[5:6]
	v_and_or_b32 v6, v7, s7, v6
	v_cmp_ne_u32_e32 vcc, 0, v6
	v_mov_b32_e32 v5, v8
	v_cndmask_b32_e64 v6, 0, 1, vcc
	v_lshrrev_b32_e32 v8, 8, v7
	v_bfe_u32 v9, v7, 20, 11
	v_and_or_b32 v6, v8, s10, v6
	v_sub_u32_e32 v10, 0x3f1, v9
	v_or_b32_e32 v8, 0x1000, v6
	v_med3_i32 v10, v10, 0, 13
	v_lshrrev_b32_e32 v11, v10, v8
	v_lshlrev_b32_e32 v10, v10, v11
	v_cmp_ne_u32_e32 vcc, v10, v8
	v_cndmask_b32_e64 v8, 0, 1, vcc
	v_add_u32_e32 v10, 0xfffffc10, v9
	v_or_b32_e32 v8, v11, v8
	v_lshl_or_b32 v9, v10, 12, v6
	v_cmp_gt_i32_e32 vcc, 1, v10
	v_cndmask_b32_e32 v8, v9, v8, vcc
	v_and_b32_e32 v9, 7, v8
	v_cmp_lt_i32_e32 vcc, 5, v9
	v_cmp_eq_u32_e64 s[0:1], 3, v9
	v_lshrrev_b32_e32 v8, 2, v8
	s_or_b64 vcc, s[0:1], vcc
	v_addc_co_u32_e32 v8, vcc, 0, v8, vcc
	v_cmp_gt_i32_e32 vcc, 31, v10
	v_cndmask_b32_e32 v11, v2, v8, vcc
	v_mul_f64 v[8:9], v[0:1], s[2:3]
	v_cmp_ne_u32_e32 vcc, 0, v6
	v_cndmask_b32_e64 v0, 0, 1, vcc
	s_movk_i32 s11, 0x40f
	v_lshl_or_b32 v0, v0, 9, v2
	v_cmp_eq_u32_e32 vcc, s11, v10
	v_cndmask_b32_e32 v0, v11, v0, vcc
	v_lshrrev_b32_e32 v1, 16, v7
	v_and_or_b32 v10, v1, s6, v0
	v_and_or_b32 v0, v9, s7, v8
	v_cmp_ne_u32_e32 vcc, 0, v0
	v_cndmask_b32_e64 v0, 0, 1, vcc
	v_lshrrev_b32_e32 v1, 8, v9
	v_bfe_u32 v6, v9, 20, 11
	v_and_or_b32 v0, v1, s10, v0
	v_sub_u32_e32 v7, 0x3f1, v6
	v_or_b32_e32 v1, 0x1000, v0
	v_med3_i32 v7, v7, 0, 13
	v_lshrrev_b32_e32 v8, v7, v1
	v_lshlrev_b32_e32 v7, v7, v8
	v_cmp_ne_u32_e32 vcc, v7, v1
	v_cndmask_b32_e64 v1, 0, 1, vcc
	v_or_b32_e32 v1, v8, v1
	v_add_u32_e32 v8, 0xfffffc10, v6
	v_lshl_or_b32 v6, v8, 12, v0
	v_cmp_gt_i32_e32 vcc, 1, v8
	v_cndmask_b32_e32 v1, v6, v1, vcc
	v_and_b32_e32 v6, 7, v1
	v_cmp_lt_i32_e32 vcc, 5, v6
	v_cmp_eq_u32_e64 s[0:1], 3, v6
	v_lshrrev_b32_e32 v1, 2, v1
	s_or_b64 vcc, s[0:1], vcc
	v_addc_co_u32_e32 v1, vcc, 0, v1, vcc
	v_cmp_gt_i32_e32 vcc, 31, v8
	v_cndmask_b32_e32 v1, v2, v1, vcc
	v_cmp_ne_u32_e32 vcc, 0, v0
	v_cndmask_b32_e64 v0, 0, 1, vcc
	v_lshl_or_b32 v0, v0, 9, v2
	v_cmp_eq_u32_e32 vcc, s11, v8
	v_cndmask_b32_e32 v11, v1, v0, vcc
	ds_read2_b32 v[0:1], v170 offset0:8 offset1:251
	v_mad_u64_u32 v[6:7], s[0:1], s8, v162, 0
	v_lshrrev_b32_e32 v9, 16, v9
	v_and_or_b32 v11, v9, s6, v11
	v_mad_u64_u32 v[7:8], s[0:1], s9, v162, v[7:8]
	s_waitcnt lgkmcnt(0)
	v_lshrrev_b32_e32 v12, 16, v1
	v_mul_f16_sdwa v8, v165, v12 dst_sel:DWORD dst_unused:UNUSED_PAD src0_sel:WORD_1 src1_sel:DWORD
	v_fma_f16 v8, v165, v1, v8
	v_cvt_f32_f16_e32 v8, v8
	v_lshlrev_b64 v[4:5], 2, v[4:5]
	v_and_b32_e32 v10, 0xffff, v10
	v_lshl_or_b32 v10, v11, 16, v10
	v_cvt_f64_f32_e32 v[8:9], v8
	v_mov_b32_e32 v11, s5
	v_add_co_u32_e32 v13, vcc, s4, v4
	v_mul_f64 v[8:9], v[8:9], s[2:3]
	v_addc_co_u32_e32 v11, vcc, v11, v5, vcc
	v_lshlrev_b64 v[4:5], 2, v[6:7]
	v_mul_f16_sdwa v1, v165, v1 dst_sel:DWORD dst_unused:UNUSED_PAD src0_sel:WORD_1 src1_sel:DWORD
	v_add_co_u32_e32 v4, vcc, v13, v4
	v_addc_co_u32_e32 v5, vcc, v11, v5, vcc
	v_and_or_b32 v6, v9, s7, v8
	v_cmp_ne_u32_e32 vcc, 0, v6
	v_cndmask_b32_e64 v6, 0, 1, vcc
	v_lshrrev_b32_e32 v7, 8, v9
	v_and_or_b32 v8, v7, s10, v6
	v_bfe_u32 v7, v9, 20, 11
	global_store_dword v[4:5], v10, off
	v_sub_u32_e32 v10, 0x3f1, v7
	v_or_b32_e32 v6, 0x1000, v8
	v_med3_i32 v10, v10, 0, 13
	v_lshrrev_b32_e32 v11, v10, v6
	v_lshlrev_b32_e32 v10, v10, v11
	v_cmp_ne_u32_e32 vcc, v10, v6
	v_fma_f16 v1, v165, v12, -v1
	v_cndmask_b32_e64 v6, 0, 1, vcc
	v_add_u32_e32 v10, 0xfffffc10, v7
	v_cvt_f32_f16_e32 v1, v1
	v_or_b32_e32 v6, v11, v6
	v_lshl_or_b32 v7, v10, 12, v8
	v_cmp_gt_i32_e32 vcc, 1, v10
	v_cndmask_b32_e32 v6, v7, v6, vcc
	v_and_b32_e32 v7, 7, v6
	v_cmp_lt_i32_e32 vcc, 5, v7
	v_cmp_eq_u32_e64 s[0:1], 3, v7
	v_lshrrev_b32_e32 v11, 2, v6
	v_cvt_f64_f32_e32 v[6:7], v1
	s_or_b64 vcc, s[0:1], vcc
	v_addc_co_u32_e32 v1, vcc, 0, v11, vcc
	v_mul_f64 v[6:7], v[6:7], s[2:3]
	v_cmp_gt_i32_e32 vcc, 31, v10
	v_cndmask_b32_e32 v1, v2, v1, vcc
	v_cmp_ne_u32_e32 vcc, 0, v8
	v_cndmask_b32_e64 v8, 0, 1, vcc
	v_lshl_or_b32 v8, v8, 9, v2
	v_cmp_eq_u32_e32 vcc, s11, v10
	v_cndmask_b32_e32 v1, v1, v8, vcc
	v_and_or_b32 v6, v7, s7, v6
	v_lshrrev_b32_e32 v8, 16, v9
	v_cmp_ne_u32_e32 vcc, 0, v6
	v_and_or_b32 v1, v8, s6, v1
	v_cndmask_b32_e64 v6, 0, 1, vcc
	v_lshrrev_b32_e32 v8, 8, v7
	v_bfe_u32 v9, v7, 20, 11
	v_and_or_b32 v6, v8, s10, v6
	v_sub_u32_e32 v10, 0x3f1, v9
	v_or_b32_e32 v8, 0x1000, v6
	v_med3_i32 v10, v10, 0, 13
	v_lshrrev_b32_e32 v11, v10, v8
	v_lshlrev_b32_e32 v10, v10, v11
	v_cmp_ne_u32_e32 vcc, v10, v8
	v_cndmask_b32_e64 v8, 0, 1, vcc
	v_add_u32_e32 v10, 0xfffffc10, v9
	v_or_b32_e32 v8, v11, v8
	v_lshl_or_b32 v9, v10, 12, v6
	v_cmp_gt_i32_e32 vcc, 1, v10
	v_cndmask_b32_e32 v8, v9, v8, vcc
	v_and_b32_e32 v9, 7, v8
	v_cmp_lt_i32_e32 vcc, 5, v9
	v_cmp_eq_u32_e64 s[0:1], 3, v9
	v_lshrrev_b32_e32 v8, 2, v8
	s_or_b64 vcc, s[0:1], vcc
	v_addc_co_u32_e32 v8, vcc, 0, v8, vcc
	v_cmp_gt_i32_e32 vcc, 31, v10
	v_cndmask_b32_e32 v11, v2, v8, vcc
	ds_read2_b32 v[8:9], v167 offset0:6 offset1:249
	v_cmp_ne_u32_e32 vcc, 0, v6
	v_cndmask_b32_e64 v6, 0, 1, vcc
	v_lshl_or_b32 v6, v6, 9, v2
	v_cmp_eq_u32_e32 vcc, s11, v10
	s_waitcnt lgkmcnt(0)
	v_lshrrev_b32_e32 v10, 16, v8
	v_cndmask_b32_e32 v6, v11, v6, vcc
	v_mul_f16_sdwa v11, v161, v10 dst_sel:DWORD dst_unused:UNUSED_PAD src0_sel:WORD_1 src1_sel:DWORD
	v_fma_f16 v11, v161, v8, v11
	v_cvt_f32_f16_e32 v11, v11
	v_lshrrev_b32_e32 v7, 16, v7
	v_and_or_b32 v6, v7, s6, v6
	v_and_b32_e32 v1, 0xffff, v1
	v_lshl_or_b32 v1, v6, 16, v1
	v_cvt_f64_f32_e32 v[6:7], v11
	s_mul_i32 s0, s9, 0x222c
	s_mul_hi_u32 s4, s8, 0x222c
	s_add_i32 s4, s4, s0
	v_mul_f64 v[6:7], v[6:7], s[2:3]
	s_mul_i32 s5, s8, 0x222c
	v_mov_b32_e32 v11, s4
	v_add_co_u32_e32 v4, vcc, s5, v4
	v_addc_co_u32_e32 v5, vcc, v5, v11, vcc
	global_store_dword v[4:5], v1, off
	v_and_or_b32 v1, v7, s7, v6
	v_cmp_ne_u32_e32 vcc, 0, v1
	v_cndmask_b32_e64 v1, 0, 1, vcc
	v_lshrrev_b32_e32 v6, 8, v7
	v_bfe_u32 v11, v7, 20, 11
	v_and_or_b32 v1, v6, s10, v1
	v_sub_u32_e32 v12, 0x3f1, v11
	v_or_b32_e32 v6, 0x1000, v1
	v_med3_i32 v12, v12, 0, 13
	v_lshrrev_b32_e32 v13, v12, v6
	v_lshlrev_b32_e32 v12, v12, v13
	v_mul_f16_sdwa v8, v161, v8 dst_sel:DWORD dst_unused:UNUSED_PAD src0_sel:WORD_1 src1_sel:DWORD
	v_cmp_ne_u32_e32 vcc, v12, v6
	v_fma_f16 v8, v161, v10, -v8
	v_cndmask_b32_e64 v6, 0, 1, vcc
	v_add_u32_e32 v12, 0xfffffc10, v11
	v_cvt_f32_f16_e32 v8, v8
	v_or_b32_e32 v6, v13, v6
	v_lshl_or_b32 v11, v12, 12, v1
	v_cmp_gt_i32_e32 vcc, 1, v12
	v_cndmask_b32_e32 v6, v11, v6, vcc
	v_and_b32_e32 v11, 7, v6
	v_cmp_lt_i32_e32 vcc, 5, v11
	v_cmp_eq_u32_e64 s[0:1], 3, v11
	v_cvt_f64_f32_e32 v[10:11], v8
	v_lshrrev_b32_e32 v6, 2, v6
	s_or_b64 vcc, s[0:1], vcc
	v_addc_co_u32_e32 v6, vcc, 0, v6, vcc
	v_mul_f64 v[10:11], v[10:11], s[2:3]
	v_cmp_gt_i32_e32 vcc, 31, v12
	v_cndmask_b32_e32 v6, v2, v6, vcc
	v_cmp_ne_u32_e32 vcc, 0, v1
	v_cndmask_b32_e64 v1, 0, 1, vcc
	v_lshl_or_b32 v1, v1, 9, v2
	v_cmp_eq_u32_e32 vcc, s11, v12
	v_cndmask_b32_e32 v1, v6, v1, vcc
	v_lshrrev_b32_e32 v6, 16, v7
	v_and_or_b32 v1, v6, s6, v1
	v_and_or_b32 v6, v11, s7, v10
	v_cmp_ne_u32_e32 vcc, 0, v6
	v_cndmask_b32_e64 v6, 0, 1, vcc
	v_lshrrev_b32_e32 v7, 8, v11
	v_bfe_u32 v8, v11, 20, 11
	v_and_or_b32 v6, v7, s10, v6
	v_sub_u32_e32 v10, 0x3f1, v8
	v_or_b32_e32 v7, 0x1000, v6
	v_med3_i32 v10, v10, 0, 13
	v_lshrrev_b32_e32 v12, v10, v7
	v_lshlrev_b32_e32 v10, v10, v12
	v_cmp_ne_u32_e32 vcc, v10, v7
	v_cndmask_b32_e64 v7, 0, 1, vcc
	v_add_u32_e32 v8, 0xfffffc10, v8
	v_or_b32_e32 v7, v12, v7
	v_lshl_or_b32 v10, v8, 12, v6
	v_cmp_gt_i32_e32 vcc, 1, v8
	v_cndmask_b32_e32 v7, v10, v7, vcc
	v_and_b32_e32 v10, 7, v7
	v_cmp_lt_i32_e32 vcc, 5, v10
	v_cmp_eq_u32_e64 s[0:1], 3, v10
	v_lshrrev_b32_e32 v10, 16, v3
	v_lshrrev_b32_e32 v7, 2, v7
	s_or_b64 vcc, s[0:1], vcc
	v_mul_f16_sdwa v12, v160, v10 dst_sel:DWORD dst_unused:UNUSED_PAD src0_sel:WORD_1 src1_sel:DWORD
	v_addc_co_u32_e32 v7, vcc, 0, v7, vcc
	v_fma_f16 v12, v160, v3, v12
	v_cmp_gt_i32_e32 vcc, 31, v8
	v_cvt_f32_f16_e32 v12, v12
	v_cndmask_b32_e32 v7, v2, v7, vcc
	v_cmp_ne_u32_e32 vcc, 0, v6
	v_cndmask_b32_e64 v6, 0, 1, vcc
	v_lshl_or_b32 v6, v6, 9, v2
	v_cmp_eq_u32_e32 vcc, s11, v8
	v_cndmask_b32_e32 v8, v7, v6, vcc
	v_cvt_f64_f32_e32 v[6:7], v12
	v_lshrrev_b32_e32 v11, 16, v11
	v_and_or_b32 v8, v11, s6, v8
	v_and_b32_e32 v1, 0xffff, v1
	v_mul_f64 v[6:7], v[6:7], s[2:3]
	v_lshl_or_b32 v1, v8, 16, v1
	v_mov_b32_e32 v8, s4
	v_add_co_u32_e32 v4, vcc, s5, v4
	v_addc_co_u32_e32 v5, vcc, v5, v8, vcc
	global_store_dword v[4:5], v1, off
	v_and_or_b32 v1, v7, s7, v6
	v_cmp_ne_u32_e32 vcc, 0, v1
	v_cndmask_b32_e64 v1, 0, 1, vcc
	v_lshrrev_b32_e32 v6, 8, v7
	v_bfe_u32 v8, v7, 20, 11
	v_and_or_b32 v1, v6, s10, v1
	v_sub_u32_e32 v11, 0x3f1, v8
	v_or_b32_e32 v6, 0x1000, v1
	v_med3_i32 v11, v11, 0, 13
	v_lshrrev_b32_e32 v12, v11, v6
	v_lshlrev_b32_e32 v11, v11, v12
	v_mul_f16_sdwa v3, v160, v3 dst_sel:DWORD dst_unused:UNUSED_PAD src0_sel:WORD_1 src1_sel:DWORD
	v_cmp_ne_u32_e32 vcc, v11, v6
	v_fma_f16 v3, v160, v10, -v3
	v_cndmask_b32_e64 v6, 0, 1, vcc
	v_add_u32_e32 v8, 0xfffffc10, v8
	v_cvt_f32_f16_e32 v3, v3
	v_or_b32_e32 v6, v12, v6
	v_lshl_or_b32 v11, v8, 12, v1
	v_cmp_gt_i32_e32 vcc, 1, v8
	v_cndmask_b32_e32 v6, v11, v6, vcc
	v_and_b32_e32 v11, 7, v6
	v_cmp_lt_i32_e32 vcc, 5, v11
	v_cmp_eq_u32_e64 s[0:1], 3, v11
	v_cvt_f64_f32_e32 v[10:11], v3
	v_lshrrev_b32_e32 v6, 2, v6
	s_or_b64 vcc, s[0:1], vcc
	v_addc_co_u32_e32 v3, vcc, 0, v6, vcc
	v_mul_f64 v[10:11], v[10:11], s[2:3]
	v_cmp_gt_i32_e32 vcc, 31, v8
	v_cndmask_b32_e32 v3, v2, v3, vcc
	v_cmp_ne_u32_e32 vcc, 0, v1
	v_cndmask_b32_e64 v1, 0, 1, vcc
	v_lshl_or_b32 v1, v1, 9, v2
	v_cmp_eq_u32_e32 vcc, s11, v8
	v_cndmask_b32_e32 v1, v3, v1, vcc
	v_lshrrev_b32_e32 v3, 16, v7
	v_and_or_b32 v1, v3, s6, v1
	v_and_or_b32 v3, v11, s7, v10
	v_cmp_ne_u32_e32 vcc, 0, v3
	v_cndmask_b32_e64 v3, 0, 1, vcc
	v_lshrrev_b32_e32 v6, 8, v11
	v_bfe_u32 v7, v11, 20, 11
	v_and_or_b32 v3, v6, s10, v3
	v_sub_u32_e32 v8, 0x3f1, v7
	v_or_b32_e32 v6, 0x1000, v3
	v_med3_i32 v8, v8, 0, 13
	v_lshrrev_b32_e32 v10, v8, v6
	v_lshlrev_b32_e32 v8, v8, v10
	v_cmp_ne_u32_e32 vcc, v8, v6
	v_cndmask_b32_e64 v6, 0, 1, vcc
	v_add_u32_e32 v8, 0xfffffc10, v7
	v_or_b32_e32 v6, v10, v6
	v_lshl_or_b32 v7, v8, 12, v3
	v_cmp_gt_i32_e32 vcc, 1, v8
	v_cndmask_b32_e32 v6, v7, v6, vcc
	v_and_b32_e32 v7, 7, v6
	v_cmp_lt_i32_e32 vcc, 5, v7
	v_cmp_eq_u32_e64 s[0:1], 3, v7
	v_lshrrev_b32_e32 v6, 2, v6
	s_or_b64 vcc, s[0:1], vcc
	v_addc_co_u32_e32 v6, vcc, 0, v6, vcc
	v_cmp_gt_i32_e32 vcc, 31, v8
	v_cndmask_b32_e32 v10, v2, v6, vcc
	ds_read2_b32 v[6:7], v166 offset0:6 offset1:249
	v_cmp_ne_u32_e32 vcc, 0, v3
	v_cndmask_b32_e64 v3, 0, 1, vcc
	v_lshl_or_b32 v3, v3, 9, v2
	v_cmp_eq_u32_e32 vcc, s11, v8
	v_cndmask_b32_e32 v3, v10, v3, vcc
	v_lshrrev_b32_e32 v8, 16, v11
	v_and_or_b32 v3, v8, s6, v3
	s_waitcnt lgkmcnt(0)
	v_lshrrev_b32_e32 v8, 16, v6
	v_mul_f16_sdwa v10, v159, v8 dst_sel:DWORD dst_unused:UNUSED_PAD src0_sel:WORD_1 src1_sel:DWORD
	v_fma_f16 v10, v159, v6, v10
	v_cvt_f32_f16_e32 v10, v10
	s_mul_hi_u32 s1, s8, 0xffffbf74
	s_mul_i32 s0, s9, 0xffffbf74
	s_sub_i32 s9, s1, s8
	v_cvt_f64_f32_e32 v[10:11], v10
	v_and_b32_e32 v1, 0xffff, v1
	s_add_i32 s9, s9, s0
	s_mulk_i32 s8, 0xbf74
	v_mul_f64 v[10:11], v[10:11], s[2:3]
	v_lshl_or_b32 v1, v3, 16, v1
	v_mov_b32_e32 v12, s9
	v_add_co_u32_e32 v3, vcc, s8, v4
	v_addc_co_u32_e32 v4, vcc, v5, v12, vcc
	global_store_dword v[3:4], v1, off
	v_and_or_b32 v1, v11, s7, v10
	v_cmp_ne_u32_e32 vcc, 0, v1
	v_cndmask_b32_e64 v1, 0, 1, vcc
	v_lshrrev_b32_e32 v5, 8, v11
	v_bfe_u32 v10, v11, 20, 11
	v_and_or_b32 v1, v5, s10, v1
	v_sub_u32_e32 v12, 0x3f1, v10
	v_or_b32_e32 v5, 0x1000, v1
	v_med3_i32 v12, v12, 0, 13
	v_lshrrev_b32_e32 v13, v12, v5
	v_mul_f16_sdwa v6, v159, v6 dst_sel:DWORD dst_unused:UNUSED_PAD src0_sel:WORD_1 src1_sel:DWORD
	v_lshlrev_b32_e32 v12, v12, v13
	v_fma_f16 v6, v159, v8, -v6
	v_cmp_ne_u32_e32 vcc, v12, v5
	v_cvt_f32_f16_e32 v6, v6
	v_cndmask_b32_e64 v5, 0, 1, vcc
	v_add_u32_e32 v10, 0xfffffc10, v10
	v_or_b32_e32 v5, v13, v5
	v_lshl_or_b32 v12, v10, 12, v1
	v_cmp_gt_i32_e32 vcc, 1, v10
	v_cndmask_b32_e32 v5, v12, v5, vcc
	v_and_b32_e32 v12, 7, v5
	v_lshrrev_b32_e32 v8, 2, v5
	v_cvt_f64_f32_e32 v[5:6], v6
	v_cmp_lt_i32_e32 vcc, 5, v12
	v_cmp_eq_u32_e64 s[0:1], 3, v12
	s_or_b64 vcc, s[0:1], vcc
	v_mul_f64 v[5:6], v[5:6], s[2:3]
	v_addc_co_u32_e32 v8, vcc, 0, v8, vcc
	v_cmp_gt_i32_e32 vcc, 31, v10
	v_cndmask_b32_e32 v8, v2, v8, vcc
	v_cmp_ne_u32_e32 vcc, 0, v1
	v_cndmask_b32_e64 v1, 0, 1, vcc
	v_lshl_or_b32 v1, v1, 9, v2
	v_cmp_eq_u32_e32 vcc, s11, v10
	v_and_or_b32 v5, v6, s7, v5
	v_cndmask_b32_e32 v1, v8, v1, vcc
	v_lshrrev_b32_e32 v8, 16, v11
	v_cmp_ne_u32_e32 vcc, 0, v5
	v_and_or_b32 v1, v8, s6, v1
	v_cndmask_b32_e64 v5, 0, 1, vcc
	v_lshrrev_b32_e32 v8, 8, v6
	v_bfe_u32 v10, v6, 20, 11
	v_and_or_b32 v5, v8, s10, v5
	v_sub_u32_e32 v11, 0x3f1, v10
	v_or_b32_e32 v8, 0x1000, v5
	v_med3_i32 v11, v11, 0, 13
	v_lshrrev_b32_e32 v12, v11, v8
	v_lshlrev_b32_e32 v11, v11, v12
	v_cmp_ne_u32_e32 vcc, v11, v8
	v_cndmask_b32_e64 v8, 0, 1, vcc
	v_add_u32_e32 v10, 0xfffffc10, v10
	v_or_b32_e32 v8, v12, v8
	v_lshl_or_b32 v11, v10, 12, v5
	v_cmp_gt_i32_e32 vcc, 1, v10
	v_cndmask_b32_e32 v8, v11, v8, vcc
	v_and_b32_e32 v11, 7, v8
	v_lshrrev_b32_e32 v12, 16, v9
	v_cmp_lt_i32_e32 vcc, 5, v11
	v_cmp_eq_u32_e64 s[0:1], 3, v11
	v_mul_f16_sdwa v11, v158, v12 dst_sel:DWORD dst_unused:UNUSED_PAD src0_sel:WORD_1 src1_sel:DWORD
	v_fma_f16 v11, v158, v9, v11
	v_lshrrev_b32_e32 v8, 2, v8
	s_or_b64 vcc, s[0:1], vcc
	v_cvt_f32_f16_e32 v11, v11
	v_addc_co_u32_e32 v8, vcc, 0, v8, vcc
	v_cmp_gt_i32_e32 vcc, 31, v10
	v_cndmask_b32_e32 v8, v2, v8, vcc
	v_cmp_ne_u32_e32 vcc, 0, v5
	v_cndmask_b32_e64 v5, 0, 1, vcc
	v_cmp_eq_u32_e32 vcc, s11, v10
	v_cvt_f64_f32_e32 v[10:11], v11
	v_lshl_or_b32 v5, v5, 9, v2
	v_cndmask_b32_e32 v5, v8, v5, vcc
	v_lshrrev_b32_e32 v6, 16, v6
	v_and_or_b32 v8, v6, s6, v5
	v_mul_f64 v[5:6], v[10:11], s[2:3]
	v_and_b32_e32 v1, 0xffff, v1
	v_lshl_or_b32 v1, v8, 16, v1
	v_mov_b32_e32 v8, s4
	v_add_co_u32_e32 v3, vcc, s5, v3
	v_addc_co_u32_e32 v4, vcc, v4, v8, vcc
	global_store_dword v[3:4], v1, off
	v_and_or_b32 v1, v6, s7, v5
	v_cmp_ne_u32_e32 vcc, 0, v1
	v_cndmask_b32_e64 v1, 0, 1, vcc
	v_lshrrev_b32_e32 v5, 8, v6
	v_bfe_u32 v8, v6, 20, 11
	v_and_or_b32 v1, v5, s10, v1
	v_sub_u32_e32 v10, 0x3f1, v8
	v_or_b32_e32 v5, 0x1000, v1
	v_med3_i32 v10, v10, 0, 13
	v_lshrrev_b32_e32 v11, v10, v5
	v_lshlrev_b32_e32 v10, v10, v11
	v_mul_f16_sdwa v9, v158, v9 dst_sel:DWORD dst_unused:UNUSED_PAD src0_sel:WORD_1 src1_sel:DWORD
	v_cmp_ne_u32_e32 vcc, v10, v5
	v_fma_f16 v9, v158, v12, -v9
	v_cndmask_b32_e64 v5, 0, 1, vcc
	v_add_u32_e32 v10, 0xfffffc10, v8
	v_cvt_f32_f16_e32 v9, v9
	v_or_b32_e32 v5, v11, v5
	v_lshl_or_b32 v8, v10, 12, v1
	v_cmp_gt_i32_e32 vcc, 1, v10
	v_cndmask_b32_e32 v5, v8, v5, vcc
	v_and_b32_e32 v8, 7, v5
	v_cmp_lt_i32_e32 vcc, 5, v8
	v_cmp_eq_u32_e64 s[0:1], 3, v8
	v_cvt_f64_f32_e32 v[8:9], v9
	v_lshrrev_b32_e32 v5, 2, v5
	s_or_b64 vcc, s[0:1], vcc
	v_addc_co_u32_e32 v5, vcc, 0, v5, vcc
	v_mul_f64 v[8:9], v[8:9], s[2:3]
	v_cmp_gt_i32_e32 vcc, 31, v10
	v_cndmask_b32_e32 v5, v2, v5, vcc
	v_cmp_ne_u32_e32 vcc, 0, v1
	v_cndmask_b32_e64 v1, 0, 1, vcc
	v_lshl_or_b32 v1, v1, 9, v2
	v_cmp_eq_u32_e32 vcc, s11, v10
	v_cndmask_b32_e32 v1, v5, v1, vcc
	v_lshrrev_b32_e32 v5, 16, v6
	v_and_or_b32 v1, v5, s6, v1
	v_and_or_b32 v5, v9, s7, v8
	v_cmp_ne_u32_e32 vcc, 0, v5
	v_cndmask_b32_e64 v5, 0, 1, vcc
	v_lshrrev_b32_e32 v6, 8, v9
	v_and_or_b32 v8, v6, s10, v5
	v_bfe_u32 v6, v9, 20, 11
	v_sub_u32_e32 v10, 0x3f1, v6
	v_or_b32_e32 v5, 0x1000, v8
	v_med3_i32 v10, v10, 0, 13
	v_lshrrev_b32_e32 v11, v10, v5
	v_lshlrev_b32_e32 v10, v10, v11
	v_cmp_ne_u32_e32 vcc, v10, v5
	v_cndmask_b32_e64 v5, 0, 1, vcc
	v_add_u32_e32 v10, 0xfffffc10, v6
	v_or_b32_e32 v5, v11, v5
	v_lshl_or_b32 v6, v10, 12, v8
	v_cmp_gt_i32_e32 vcc, 1, v10
	v_cndmask_b32_e32 v5, v6, v5, vcc
	v_and_b32_e32 v6, 7, v5
	v_cmp_lt_i32_e32 vcc, 5, v6
	v_cmp_eq_u32_e64 s[0:1], 3, v6
	v_lshrrev_b32_e32 v5, 2, v5
	s_or_b64 vcc, s[0:1], vcc
	v_addc_co_u32_e32 v11, vcc, 0, v5, vcc
	ds_read2_b32 v[5:6], v163 offset0:6 offset1:249
	v_cmp_gt_i32_e32 vcc, 31, v10
	v_cndmask_b32_e32 v11, v2, v11, vcc
	v_cmp_ne_u32_e32 vcc, 0, v8
	v_cndmask_b32_e64 v8, 0, 1, vcc
	s_waitcnt lgkmcnt(0)
	v_lshrrev_b32_e32 v12, 16, v5
	v_mul_f16_sdwa v13, v156, v12 dst_sel:DWORD dst_unused:UNUSED_PAD src0_sel:WORD_1 src1_sel:DWORD
	v_fma_f16 v13, v156, v5, v13
	v_cvt_f32_f16_e32 v13, v13
	v_lshl_or_b32 v8, v8, 9, v2
	v_cmp_eq_u32_e32 vcc, s11, v10
	v_cndmask_b32_e32 v8, v11, v8, vcc
	v_cvt_f64_f32_e32 v[10:11], v13
	v_lshrrev_b32_e32 v9, 16, v9
	v_and_or_b32 v13, v9, s6, v8
	v_and_b32_e32 v1, 0xffff, v1
	v_mul_f64 v[8:9], v[10:11], s[2:3]
	v_mov_b32_e32 v10, s4
	v_add_co_u32_e32 v3, vcc, s5, v3
	v_lshl_or_b32 v1, v13, 16, v1
	v_addc_co_u32_e32 v4, vcc, v4, v10, vcc
	global_store_dword v[3:4], v1, off
	v_and_or_b32 v1, v9, s7, v8
	v_cmp_ne_u32_e32 vcc, 0, v1
	v_cndmask_b32_e64 v1, 0, 1, vcc
	v_lshrrev_b32_e32 v8, 8, v9
	v_bfe_u32 v10, v9, 20, 11
	v_and_or_b32 v1, v8, s10, v1
	v_sub_u32_e32 v11, 0x3f1, v10
	v_or_b32_e32 v8, 0x1000, v1
	v_med3_i32 v11, v11, 0, 13
	v_lshrrev_b32_e32 v13, v11, v8
	v_lshlrev_b32_e32 v11, v11, v13
	v_cmp_ne_u32_e32 vcc, v11, v8
	v_mul_f16_sdwa v5, v156, v5 dst_sel:DWORD dst_unused:UNUSED_PAD src0_sel:WORD_1 src1_sel:DWORD
	v_cndmask_b32_e64 v8, 0, 1, vcc
	v_fma_f16 v5, v156, v12, -v5
	v_or_b32_e32 v8, v13, v8
	v_add_u32_e32 v13, 0xfffffc10, v10
	v_cvt_f32_f16_e32 v5, v5
	v_lshl_or_b32 v10, v13, 12, v1
	v_cmp_gt_i32_e32 vcc, 1, v13
	v_cndmask_b32_e32 v8, v10, v8, vcc
	v_and_b32_e32 v10, 7, v8
	v_cmp_lt_i32_e32 vcc, 5, v10
	v_cmp_eq_u32_e64 s[0:1], 3, v10
	v_cvt_f64_f32_e32 v[10:11], v5
	v_lshrrev_b32_e32 v8, 2, v8
	s_or_b64 vcc, s[0:1], vcc
	v_addc_co_u32_e32 v5, vcc, 0, v8, vcc
	v_mul_f64 v[10:11], v[10:11], s[2:3]
	v_cmp_gt_i32_e32 vcc, 31, v13
	v_cndmask_b32_e32 v5, v2, v5, vcc
	v_cmp_ne_u32_e32 vcc, 0, v1
	v_cndmask_b32_e64 v1, 0, 1, vcc
	v_lshl_or_b32 v1, v1, 9, v2
	v_cmp_eq_u32_e32 vcc, s11, v13
	v_cndmask_b32_e32 v1, v5, v1, vcc
	v_lshrrev_b32_e32 v5, 16, v9
	v_and_or_b32 v1, v5, s6, v1
	v_and_or_b32 v5, v11, s7, v10
	v_cmp_ne_u32_e32 vcc, 0, v5
	v_cndmask_b32_e64 v5, 0, 1, vcc
	v_lshrrev_b32_e32 v8, 8, v11
	v_bfe_u32 v9, v11, 20, 11
	v_and_or_b32 v5, v8, s10, v5
	v_sub_u32_e32 v10, 0x3f1, v9
	v_or_b32_e32 v8, 0x1000, v5
	v_med3_i32 v10, v10, 0, 13
	v_lshrrev_b32_e32 v12, v10, v8
	v_lshlrev_b32_e32 v10, v10, v12
	v_cmp_ne_u32_e32 vcc, v10, v8
	v_cndmask_b32_e64 v8, 0, 1, vcc
	v_add_u32_e32 v9, 0xfffffc10, v9
	v_or_b32_e32 v8, v12, v8
	v_lshl_or_b32 v10, v9, 12, v5
	v_cmp_gt_i32_e32 vcc, 1, v9
	v_cndmask_b32_e32 v8, v10, v8, vcc
	v_and_b32_e32 v10, 7, v8
	v_cmp_lt_i32_e32 vcc, 5, v10
	v_cmp_eq_u32_e64 s[0:1], 3, v10
	v_lshrrev_b32_e32 v10, 16, v7
	v_lshrrev_b32_e32 v8, 2, v8
	s_or_b64 vcc, s[0:1], vcc
	v_mul_f16_sdwa v12, v155, v10 dst_sel:DWORD dst_unused:UNUSED_PAD src0_sel:WORD_1 src1_sel:DWORD
	v_addc_co_u32_e32 v8, vcc, 0, v8, vcc
	v_fma_f16 v12, v155, v7, v12
	v_cmp_gt_i32_e32 vcc, 31, v9
	v_cvt_f32_f16_e32 v12, v12
	v_cndmask_b32_e32 v8, v2, v8, vcc
	v_cmp_ne_u32_e32 vcc, 0, v5
	v_cndmask_b32_e64 v5, 0, 1, vcc
	v_lshl_or_b32 v5, v5, 9, v2
	v_cmp_eq_u32_e32 vcc, s11, v9
	v_cndmask_b32_e32 v5, v8, v5, vcc
	v_cvt_f64_f32_e32 v[8:9], v12
	v_lshrrev_b32_e32 v11, 16, v11
	v_and_or_b32 v5, v11, s6, v5
	v_and_b32_e32 v1, 0xffff, v1
	v_mul_f64 v[8:9], v[8:9], s[2:3]
	v_lshl_or_b32 v1, v5, 16, v1
	v_mov_b32_e32 v5, s9
	v_add_co_u32_e32 v3, vcc, s8, v3
	v_addc_co_u32_e32 v4, vcc, v4, v5, vcc
	global_store_dword v[3:4], v1, off
	v_and_or_b32 v1, v9, s7, v8
	v_cmp_ne_u32_e32 vcc, 0, v1
	v_cndmask_b32_e64 v1, 0, 1, vcc
	v_lshrrev_b32_e32 v5, 8, v9
	v_bfe_u32 v8, v9, 20, 11
	v_and_or_b32 v1, v5, s10, v1
	v_sub_u32_e32 v11, 0x3f1, v8
	v_or_b32_e32 v5, 0x1000, v1
	v_med3_i32 v11, v11, 0, 13
	v_lshrrev_b32_e32 v12, v11, v5
	v_lshlrev_b32_e32 v11, v11, v12
	v_mul_f16_sdwa v7, v155, v7 dst_sel:DWORD dst_unused:UNUSED_PAD src0_sel:WORD_1 src1_sel:DWORD
	v_cmp_ne_u32_e32 vcc, v11, v5
	v_fma_f16 v7, v155, v10, -v7
	v_cndmask_b32_e64 v5, 0, 1, vcc
	v_add_u32_e32 v11, 0xfffffc10, v8
	v_cvt_f32_f16_e32 v7, v7
	v_or_b32_e32 v5, v12, v5
	v_lshl_or_b32 v8, v11, 12, v1
	v_cmp_gt_i32_e32 vcc, 1, v11
	v_cndmask_b32_e32 v5, v8, v5, vcc
	v_and_b32_e32 v8, 7, v5
	v_cmp_lt_i32_e32 vcc, 5, v8
	v_cmp_eq_u32_e64 s[0:1], 3, v8
	v_cvt_f64_f32_e32 v[7:8], v7
	v_lshrrev_b32_e32 v5, 2, v5
	s_or_b64 vcc, s[0:1], vcc
	v_addc_co_u32_e32 v5, vcc, 0, v5, vcc
	v_mul_f64 v[7:8], v[7:8], s[2:3]
	v_cmp_gt_i32_e32 vcc, 31, v11
	v_cndmask_b32_e32 v5, v2, v5, vcc
	v_cmp_ne_u32_e32 vcc, 0, v1
	v_cndmask_b32_e64 v1, 0, 1, vcc
	v_lshl_or_b32 v1, v1, 9, v2
	v_cmp_eq_u32_e32 vcc, s11, v11
	v_cndmask_b32_e32 v1, v5, v1, vcc
	v_lshrrev_b32_e32 v5, 16, v9
	v_and_or_b32 v1, v5, s6, v1
	v_and_or_b32 v5, v8, s7, v7
	v_cmp_ne_u32_e32 vcc, 0, v5
	v_cndmask_b32_e64 v5, 0, 1, vcc
	v_lshrrev_b32_e32 v7, 8, v8
	v_bfe_u32 v9, v8, 20, 11
	v_and_or_b32 v5, v7, s10, v5
	v_sub_u32_e32 v10, 0x3f1, v9
	v_or_b32_e32 v7, 0x1000, v5
	v_med3_i32 v10, v10, 0, 13
	v_lshrrev_b32_e32 v11, v10, v7
	v_lshlrev_b32_e32 v10, v10, v11
	v_cmp_ne_u32_e32 vcc, v10, v7
	v_cndmask_b32_e64 v7, 0, 1, vcc
	v_or_b32_e32 v7, v11, v7
	v_add_u32_e32 v11, 0xfffffc10, v9
	v_lshl_or_b32 v9, v11, 12, v5
	v_cmp_gt_i32_e32 vcc, 1, v11
	v_cndmask_b32_e32 v7, v9, v7, vcc
	v_and_b32_e32 v9, 7, v7
	v_cmp_lt_i32_e32 vcc, 5, v9
	v_cmp_eq_u32_e64 s[0:1], 3, v9
	ds_read2_b32 v[9:10], v164 offset0:12 offset1:255
	v_lshrrev_b32_e32 v7, 2, v7
	s_or_b64 vcc, s[0:1], vcc
	v_addc_co_u32_e32 v7, vcc, 0, v7, vcc
	s_waitcnt lgkmcnt(0)
	v_lshrrev_b32_e32 v13, 16, v9
	v_mul_f16_sdwa v12, v153, v13 dst_sel:DWORD dst_unused:UNUSED_PAD src0_sel:WORD_1 src1_sel:DWORD
	v_fma_f16 v12, v153, v9, v12
	v_cvt_f32_f16_e32 v12, v12
	v_cmp_gt_i32_e32 vcc, 31, v11
	v_cndmask_b32_e32 v7, v2, v7, vcc
	v_cmp_ne_u32_e32 vcc, 0, v5
	v_cndmask_b32_e64 v5, 0, 1, vcc
	v_cmp_eq_u32_e32 vcc, s11, v11
	v_cvt_f64_f32_e32 v[11:12], v12
	v_lshl_or_b32 v5, v5, 9, v2
	v_cndmask_b32_e32 v5, v7, v5, vcc
	v_lshrrev_b32_e32 v7, 16, v8
	v_and_or_b32 v5, v7, s6, v5
	v_mul_f64 v[7:8], v[11:12], s[2:3]
	v_and_b32_e32 v1, 0xffff, v1
	v_lshl_or_b32 v1, v5, 16, v1
	v_mov_b32_e32 v5, s4
	v_add_co_u32_e32 v3, vcc, s5, v3
	v_addc_co_u32_e32 v4, vcc, v4, v5, vcc
	global_store_dword v[3:4], v1, off
	v_and_or_b32 v1, v8, s7, v7
	v_cmp_ne_u32_e32 vcc, 0, v1
	v_cndmask_b32_e64 v1, 0, 1, vcc
	v_lshrrev_b32_e32 v5, 8, v8
	v_bfe_u32 v7, v8, 20, 11
	v_and_or_b32 v1, v5, s10, v1
	v_sub_u32_e32 v11, 0x3f1, v7
	v_or_b32_e32 v5, 0x1000, v1
	v_med3_i32 v11, v11, 0, 13
	v_lshrrev_b32_e32 v12, v11, v5
	v_lshlrev_b32_e32 v11, v11, v12
	v_mul_f16_sdwa v9, v153, v9 dst_sel:DWORD dst_unused:UNUSED_PAD src0_sel:WORD_1 src1_sel:DWORD
	v_cmp_ne_u32_e32 vcc, v11, v5
	v_fma_f16 v9, v153, v13, -v9
	v_cndmask_b32_e64 v5, 0, 1, vcc
	v_add_u32_e32 v7, 0xfffffc10, v7
	v_cvt_f32_f16_e32 v9, v9
	v_or_b32_e32 v5, v12, v5
	v_lshl_or_b32 v11, v7, 12, v1
	v_cmp_gt_i32_e32 vcc, 1, v7
	v_cndmask_b32_e32 v5, v11, v5, vcc
	v_and_b32_e32 v11, 7, v5
	v_cmp_lt_i32_e32 vcc, 5, v11
	v_cmp_eq_u32_e64 s[0:1], 3, v11
	v_cvt_f64_f32_e32 v[11:12], v9
	v_lshrrev_b32_e32 v5, 2, v5
	s_or_b64 vcc, s[0:1], vcc
	v_addc_co_u32_e32 v5, vcc, 0, v5, vcc
	v_mul_f64 v[11:12], v[11:12], s[2:3]
	v_cmp_gt_i32_e32 vcc, 31, v7
	v_cndmask_b32_e32 v5, v2, v5, vcc
	v_cmp_ne_u32_e32 vcc, 0, v1
	v_cndmask_b32_e64 v1, 0, 1, vcc
	v_lshl_or_b32 v1, v1, 9, v2
	v_cmp_eq_u32_e32 vcc, s11, v7
	v_cndmask_b32_e32 v1, v5, v1, vcc
	v_lshrrev_b32_e32 v5, 16, v8
	v_and_or_b32 v1, v5, s6, v1
	v_and_or_b32 v5, v12, s7, v11
	v_cmp_ne_u32_e32 vcc, 0, v5
	v_cndmask_b32_e64 v5, 0, 1, vcc
	v_lshrrev_b32_e32 v7, 8, v12
	v_bfe_u32 v8, v12, 20, 11
	v_and_or_b32 v5, v7, s10, v5
	v_sub_u32_e32 v9, 0x3f1, v8
	v_or_b32_e32 v7, 0x1000, v5
	v_med3_i32 v9, v9, 0, 13
	v_lshrrev_b32_e32 v11, v9, v7
	v_lshlrev_b32_e32 v9, v9, v11
	v_cmp_ne_u32_e32 vcc, v9, v7
	v_cndmask_b32_e64 v7, 0, 1, vcc
	v_add_u32_e32 v8, 0xfffffc10, v8
	v_or_b32_e32 v7, v11, v7
	v_lshl_or_b32 v9, v8, 12, v5
	v_cmp_gt_i32_e32 vcc, 1, v8
	v_cndmask_b32_e32 v7, v9, v7, vcc
	v_and_b32_e32 v9, 7, v7
	v_cmp_lt_i32_e32 vcc, 5, v9
	v_cmp_eq_u32_e64 s[0:1], 3, v9
	v_lshrrev_b32_e32 v9, 16, v6
	v_lshrrev_b32_e32 v7, 2, v7
	s_or_b64 vcc, s[0:1], vcc
	v_mul_f16_sdwa v11, v151, v9 dst_sel:DWORD dst_unused:UNUSED_PAD src0_sel:WORD_1 src1_sel:DWORD
	v_addc_co_u32_e32 v7, vcc, 0, v7, vcc
	v_fma_f16 v11, v151, v6, v11
	v_cmp_gt_i32_e32 vcc, 31, v8
	v_cvt_f32_f16_e32 v11, v11
	v_cndmask_b32_e32 v7, v2, v7, vcc
	v_cmp_ne_u32_e32 vcc, 0, v5
	v_cndmask_b32_e64 v5, 0, 1, vcc
	v_lshl_or_b32 v5, v5, 9, v2
	v_cmp_eq_u32_e32 vcc, s11, v8
	v_cndmask_b32_e32 v5, v7, v5, vcc
	v_cvt_f64_f32_e32 v[7:8], v11
	v_lshrrev_b32_e32 v11, 16, v12
	v_and_or_b32 v5, v11, s6, v5
	v_and_b32_e32 v1, 0xffff, v1
	v_mul_f64 v[7:8], v[7:8], s[2:3]
	v_lshl_or_b32 v1, v5, 16, v1
	v_mov_b32_e32 v5, s4
	v_add_co_u32_e32 v3, vcc, s5, v3
	v_addc_co_u32_e32 v4, vcc, v4, v5, vcc
	global_store_dword v[3:4], v1, off
	v_and_or_b32 v1, v8, s7, v7
	v_cmp_ne_u32_e32 vcc, 0, v1
	v_cndmask_b32_e64 v1, 0, 1, vcc
	v_lshrrev_b32_e32 v5, 8, v8
	v_bfe_u32 v7, v8, 20, 11
	v_and_or_b32 v1, v5, s10, v1
	v_sub_u32_e32 v11, 0x3f1, v7
	v_or_b32_e32 v5, 0x1000, v1
	v_med3_i32 v11, v11, 0, 13
	v_lshrrev_b32_e32 v12, v11, v5
	v_mul_f16_sdwa v6, v151, v6 dst_sel:DWORD dst_unused:UNUSED_PAD src0_sel:WORD_1 src1_sel:DWORD
	v_lshlrev_b32_e32 v11, v11, v12
	v_fma_f16 v6, v151, v9, -v6
	v_cmp_ne_u32_e32 vcc, v11, v5
	v_cvt_f32_f16_e32 v6, v6
	v_cndmask_b32_e64 v5, 0, 1, vcc
	v_add_u32_e32 v7, 0xfffffc10, v7
	v_or_b32_e32 v5, v12, v5
	v_lshl_or_b32 v11, v7, 12, v1
	v_cmp_gt_i32_e32 vcc, 1, v7
	v_cndmask_b32_e32 v5, v11, v5, vcc
	v_and_b32_e32 v11, 7, v5
	v_lshrrev_b32_e32 v9, 2, v5
	v_cvt_f64_f32_e32 v[5:6], v6
	v_cmp_lt_i32_e32 vcc, 5, v11
	v_cmp_eq_u32_e64 s[0:1], 3, v11
	s_or_b64 vcc, s[0:1], vcc
	v_mul_f64 v[5:6], v[5:6], s[2:3]
	v_addc_co_u32_e32 v9, vcc, 0, v9, vcc
	v_cmp_gt_i32_e32 vcc, 31, v7
	v_cndmask_b32_e32 v9, v2, v9, vcc
	v_cmp_ne_u32_e32 vcc, 0, v1
	v_cndmask_b32_e64 v1, 0, 1, vcc
	v_lshl_or_b32 v1, v1, 9, v2
	v_cmp_eq_u32_e32 vcc, s11, v7
	v_and_or_b32 v5, v6, s7, v5
	v_cndmask_b32_e32 v1, v9, v1, vcc
	v_lshrrev_b32_e32 v7, 16, v8
	v_cmp_ne_u32_e32 vcc, 0, v5
	v_and_or_b32 v1, v7, s6, v1
	v_cndmask_b32_e64 v5, 0, 1, vcc
	v_lshrrev_b32_e32 v7, 8, v6
	v_bfe_u32 v8, v6, 20, 11
	v_and_or_b32 v5, v7, s10, v5
	v_sub_u32_e32 v9, 0x3f1, v8
	v_or_b32_e32 v7, 0x1000, v5
	v_med3_i32 v9, v9, 0, 13
	v_lshrrev_b32_e32 v11, v9, v7
	v_lshlrev_b32_e32 v9, v9, v11
	v_cmp_ne_u32_e32 vcc, v9, v7
	v_cndmask_b32_e64 v7, 0, 1, vcc
	v_add_u32_e32 v9, 0xfffffc10, v8
	v_or_b32_e32 v7, v11, v7
	v_lshl_or_b32 v8, v9, 12, v5
	v_cmp_gt_i32_e32 vcc, 1, v9
	v_cndmask_b32_e32 v7, v8, v7, vcc
	v_and_b32_e32 v8, 7, v7
	v_cmp_lt_i32_e32 vcc, 5, v8
	v_cmp_eq_u32_e64 s[0:1], 3, v8
	v_lshrrev_b32_e32 v7, 2, v7
	s_or_b64 vcc, s[0:1], vcc
	v_addc_co_u32_e32 v11, vcc, 0, v7, vcc
	ds_read2_b32 v[7:8], v157 offset0:4 offset1:247
	v_cmp_gt_i32_e32 vcc, 31, v9
	v_cndmask_b32_e32 v11, v2, v11, vcc
	v_cmp_ne_u32_e32 vcc, 0, v5
	v_cndmask_b32_e64 v5, 0, 1, vcc
	s_waitcnt lgkmcnt(0)
	v_lshrrev_b32_e32 v13, 16, v7
	v_mul_f16_sdwa v12, v150, v13 dst_sel:DWORD dst_unused:UNUSED_PAD src0_sel:WORD_1 src1_sel:DWORD
	v_fma_f16 v12, v150, v7, v12
	v_cvt_f32_f16_e32 v12, v12
	v_lshl_or_b32 v5, v5, 9, v2
	v_cmp_eq_u32_e32 vcc, s11, v9
	v_cndmask_b32_e32 v5, v11, v5, vcc
	v_cvt_f64_f32_e32 v[11:12], v12
	v_lshrrev_b32_e32 v6, 16, v6
	v_and_or_b32 v9, v6, s6, v5
	v_and_b32_e32 v1, 0xffff, v1
	v_mul_f64 v[5:6], v[11:12], s[2:3]
	v_lshl_or_b32 v1, v9, 16, v1
	v_mov_b32_e32 v9, s9
	v_add_co_u32_e32 v3, vcc, s8, v3
	v_addc_co_u32_e32 v4, vcc, v4, v9, vcc
	global_store_dword v[3:4], v1, off
	v_and_or_b32 v1, v6, s7, v5
	v_cmp_ne_u32_e32 vcc, 0, v1
	v_cndmask_b32_e64 v1, 0, 1, vcc
	v_lshrrev_b32_e32 v5, 8, v6
	v_bfe_u32 v9, v6, 20, 11
	v_and_or_b32 v1, v5, s10, v1
	v_sub_u32_e32 v11, 0x3f1, v9
	v_or_b32_e32 v5, 0x1000, v1
	v_med3_i32 v11, v11, 0, 13
	v_lshrrev_b32_e32 v12, v11, v5
	v_lshlrev_b32_e32 v11, v11, v12
	v_mul_f16_sdwa v7, v150, v7 dst_sel:DWORD dst_unused:UNUSED_PAD src0_sel:WORD_1 src1_sel:DWORD
	v_cmp_ne_u32_e32 vcc, v11, v5
	v_fma_f16 v7, v150, v13, -v7
	v_cndmask_b32_e64 v5, 0, 1, vcc
	v_add_u32_e32 v9, 0xfffffc10, v9
	v_cvt_f32_f16_e32 v7, v7
	v_or_b32_e32 v5, v12, v5
	v_lshl_or_b32 v11, v9, 12, v1
	v_cmp_gt_i32_e32 vcc, 1, v9
	v_cndmask_b32_e32 v5, v11, v5, vcc
	v_and_b32_e32 v11, 7, v5
	v_cmp_lt_i32_e32 vcc, 5, v11
	v_cmp_eq_u32_e64 s[0:1], 3, v11
	v_cvt_f64_f32_e32 v[11:12], v7
	v_lshrrev_b32_e32 v5, 2, v5
	s_or_b64 vcc, s[0:1], vcc
	v_addc_co_u32_e32 v5, vcc, 0, v5, vcc
	v_mul_f64 v[11:12], v[11:12], s[2:3]
	v_cmp_gt_i32_e32 vcc, 31, v9
	v_cndmask_b32_e32 v5, v2, v5, vcc
	v_cmp_ne_u32_e32 vcc, 0, v1
	v_cndmask_b32_e64 v1, 0, 1, vcc
	v_lshl_or_b32 v1, v1, 9, v2
	v_cmp_eq_u32_e32 vcc, s11, v9
	v_cndmask_b32_e32 v1, v5, v1, vcc
	v_lshrrev_b32_e32 v5, 16, v6
	v_and_or_b32 v1, v5, s6, v1
	v_and_or_b32 v5, v12, s7, v11
	v_cmp_ne_u32_e32 vcc, 0, v5
	v_cndmask_b32_e64 v5, 0, 1, vcc
	v_lshrrev_b32_e32 v6, 8, v12
	v_bfe_u32 v7, v12, 20, 11
	v_and_or_b32 v5, v6, s10, v5
	v_sub_u32_e32 v9, 0x3f1, v7
	v_or_b32_e32 v6, 0x1000, v5
	v_med3_i32 v9, v9, 0, 13
	v_lshrrev_b32_e32 v11, v9, v6
	v_lshlrev_b32_e32 v9, v9, v11
	v_cmp_ne_u32_e32 vcc, v9, v6
	v_cndmask_b32_e64 v6, 0, 1, vcc
	v_add_u32_e32 v7, 0xfffffc10, v7
	v_or_b32_e32 v6, v11, v6
	v_lshl_or_b32 v9, v7, 12, v5
	v_cmp_gt_i32_e32 vcc, 1, v7
	v_cndmask_b32_e32 v6, v9, v6, vcc
	v_and_b32_e32 v9, 7, v6
	v_cmp_lt_i32_e32 vcc, 5, v9
	v_cmp_eq_u32_e64 s[0:1], 3, v9
	v_lshrrev_b32_e32 v9, 16, v10
	v_lshrrev_b32_e32 v6, 2, v6
	s_or_b64 vcc, s[0:1], vcc
	v_mul_f16_sdwa v11, v148, v9 dst_sel:DWORD dst_unused:UNUSED_PAD src0_sel:WORD_1 src1_sel:DWORD
	v_addc_co_u32_e32 v6, vcc, 0, v6, vcc
	v_fma_f16 v11, v148, v10, v11
	v_cmp_gt_i32_e32 vcc, 31, v7
	v_cvt_f32_f16_e32 v11, v11
	v_cndmask_b32_e32 v6, v2, v6, vcc
	v_cmp_ne_u32_e32 vcc, 0, v5
	v_cndmask_b32_e64 v5, 0, 1, vcc
	v_lshl_or_b32 v5, v5, 9, v2
	v_cmp_eq_u32_e32 vcc, s11, v7
	v_cndmask_b32_e32 v7, v6, v5, vcc
	v_cvt_f64_f32_e32 v[5:6], v11
	v_lshrrev_b32_e32 v11, 16, v12
	v_and_or_b32 v7, v11, s6, v7
	v_and_b32_e32 v1, 0xffff, v1
	v_mul_f64 v[5:6], v[5:6], s[2:3]
	v_lshl_or_b32 v1, v7, 16, v1
	v_mov_b32_e32 v7, s4
	v_add_co_u32_e32 v3, vcc, s5, v3
	v_addc_co_u32_e32 v4, vcc, v4, v7, vcc
	global_store_dword v[3:4], v1, off
	v_and_or_b32 v1, v6, s7, v5
	v_cmp_ne_u32_e32 vcc, 0, v1
	v_cndmask_b32_e64 v1, 0, 1, vcc
	v_lshrrev_b32_e32 v5, 8, v6
	v_bfe_u32 v7, v6, 20, 11
	v_mul_f16_sdwa v10, v148, v10 dst_sel:DWORD dst_unused:UNUSED_PAD src0_sel:WORD_1 src1_sel:DWORD
	v_and_or_b32 v1, v5, s10, v1
	v_sub_u32_e32 v11, 0x3f1, v7
	v_fma_f16 v9, v148, v9, -v10
	v_or_b32_e32 v5, 0x1000, v1
	v_med3_i32 v11, v11, 0, 13
	v_cvt_f32_f16_e32 v9, v9
	v_lshrrev_b32_e32 v12, v11, v5
	v_lshlrev_b32_e32 v11, v11, v12
	v_cmp_ne_u32_e32 vcc, v11, v5
	v_cndmask_b32_e64 v5, 0, 1, vcc
	v_add_u32_e32 v7, 0xfffffc10, v7
	v_cvt_f64_f32_e32 v[9:10], v9
	v_or_b32_e32 v5, v12, v5
	v_lshl_or_b32 v11, v7, 12, v1
	v_cmp_gt_i32_e32 vcc, 1, v7
	v_cndmask_b32_e32 v5, v11, v5, vcc
	v_and_b32_e32 v11, 7, v5
	v_cmp_lt_i32_e32 vcc, 5, v11
	v_cmp_eq_u32_e64 s[0:1], 3, v11
	v_mul_f64 v[9:10], v[9:10], s[2:3]
	v_lshrrev_b32_e32 v5, 2, v5
	s_or_b64 vcc, s[0:1], vcc
	v_addc_co_u32_e32 v5, vcc, 0, v5, vcc
	v_cmp_gt_i32_e32 vcc, 31, v7
	v_cndmask_b32_e32 v5, v2, v5, vcc
	v_cmp_ne_u32_e32 vcc, 0, v1
	v_cndmask_b32_e64 v1, 0, 1, vcc
	v_lshl_or_b32 v1, v1, 9, v2
	v_cmp_eq_u32_e32 vcc, s11, v7
	v_cndmask_b32_e32 v1, v5, v1, vcc
	v_lshrrev_b32_e32 v5, 16, v6
	v_and_or_b32 v1, v5, s6, v1
	v_and_or_b32 v5, v10, s7, v9
	v_cmp_ne_u32_e32 vcc, 0, v5
	v_cndmask_b32_e64 v5, 0, 1, vcc
	v_lshrrev_b32_e32 v6, 8, v10
	v_and_or_b32 v7, v6, s10, v5
	v_bfe_u32 v6, v10, 20, 11
	v_sub_u32_e32 v9, 0x3f1, v6
	v_or_b32_e32 v5, 0x1000, v7
	v_med3_i32 v9, v9, 0, 13
	v_lshrrev_b32_e32 v11, v9, v5
	v_lshlrev_b32_e32 v9, v9, v11
	v_cmp_ne_u32_e32 vcc, v9, v5
	v_cndmask_b32_e64 v5, 0, 1, vcc
	v_add_u32_e32 v9, 0xfffffc10, v6
	v_or_b32_e32 v5, v11, v5
	v_lshl_or_b32 v6, v9, 12, v7
	v_cmp_gt_i32_e32 vcc, 1, v9
	v_cndmask_b32_e32 v5, v6, v5, vcc
	v_and_b32_e32 v6, 7, v5
	v_cmp_lt_i32_e32 vcc, 5, v6
	v_cmp_eq_u32_e64 s[0:1], 3, v6
	v_lshrrev_b32_e32 v5, 2, v5
	s_or_b64 vcc, s[0:1], vcc
	v_addc_co_u32_e32 v11, vcc, 0, v5, vcc
	ds_read2_b32 v[5:6], v154 offset0:12 offset1:255
	v_cmp_gt_i32_e32 vcc, 31, v9
	v_cndmask_b32_e32 v11, v2, v11, vcc
	v_cmp_ne_u32_e32 vcc, 0, v7
	v_cndmask_b32_e64 v7, 0, 1, vcc
	s_waitcnt lgkmcnt(0)
	v_lshrrev_b32_e32 v13, 16, v5
	v_mul_f16_sdwa v12, v144, v13 dst_sel:DWORD dst_unused:UNUSED_PAD src0_sel:WORD_1 src1_sel:DWORD
	v_fma_f16 v12, v144, v5, v12
	v_cvt_f32_f16_e32 v12, v12
	v_lshl_or_b32 v7, v7, 9, v2
	v_cmp_eq_u32_e32 vcc, s11, v9
	v_cndmask_b32_e32 v7, v11, v7, vcc
	v_cvt_f64_f32_e32 v[11:12], v12
	v_lshrrev_b32_e32 v9, 16, v10
	v_and_or_b32 v7, v9, s6, v7
	v_and_b32_e32 v1, 0xffff, v1
	v_mul_f64 v[9:10], v[11:12], s[2:3]
	v_lshl_or_b32 v1, v7, 16, v1
	v_mov_b32_e32 v7, s4
	v_add_co_u32_e32 v3, vcc, s5, v3
	v_addc_co_u32_e32 v4, vcc, v4, v7, vcc
	global_store_dword v[3:4], v1, off
	v_and_or_b32 v1, v10, s7, v9
	v_cmp_ne_u32_e32 vcc, 0, v1
	v_cndmask_b32_e64 v1, 0, 1, vcc
	v_lshrrev_b32_e32 v7, 8, v10
	v_bfe_u32 v9, v10, 20, 11
	v_and_or_b32 v1, v7, s10, v1
	v_sub_u32_e32 v11, 0x3f1, v9
	v_or_b32_e32 v7, 0x1000, v1
	v_med3_i32 v11, v11, 0, 13
	v_lshrrev_b32_e32 v12, v11, v7
	v_lshlrev_b32_e32 v11, v11, v12
	v_mul_f16_sdwa v5, v144, v5 dst_sel:DWORD dst_unused:UNUSED_PAD src0_sel:WORD_1 src1_sel:DWORD
	v_cmp_ne_u32_e32 vcc, v11, v7
	v_fma_f16 v5, v144, v13, -v5
	v_cndmask_b32_e64 v7, 0, 1, vcc
	v_add_u32_e32 v9, 0xfffffc10, v9
	v_cvt_f32_f16_e32 v5, v5
	v_or_b32_e32 v7, v12, v7
	v_lshl_or_b32 v11, v9, 12, v1
	v_cmp_gt_i32_e32 vcc, 1, v9
	v_cndmask_b32_e32 v7, v11, v7, vcc
	v_and_b32_e32 v11, 7, v7
	v_cmp_lt_i32_e32 vcc, 5, v11
	v_cmp_eq_u32_e64 s[0:1], 3, v11
	v_cvt_f64_f32_e32 v[11:12], v5
	v_lshrrev_b32_e32 v7, 2, v7
	s_or_b64 vcc, s[0:1], vcc
	v_addc_co_u32_e32 v5, vcc, 0, v7, vcc
	v_mul_f64 v[11:12], v[11:12], s[2:3]
	v_cmp_gt_i32_e32 vcc, 31, v9
	v_cndmask_b32_e32 v5, v2, v5, vcc
	v_cmp_ne_u32_e32 vcc, 0, v1
	v_cndmask_b32_e64 v1, 0, 1, vcc
	v_lshl_or_b32 v1, v1, 9, v2
	v_cmp_eq_u32_e32 vcc, s11, v9
	v_cndmask_b32_e32 v1, v5, v1, vcc
	v_lshrrev_b32_e32 v5, 16, v10
	v_and_or_b32 v1, v5, s6, v1
	v_and_or_b32 v5, v12, s7, v11
	v_cmp_ne_u32_e32 vcc, 0, v5
	v_cndmask_b32_e64 v5, 0, 1, vcc
	v_lshrrev_b32_e32 v7, 8, v12
	v_bfe_u32 v9, v12, 20, 11
	v_and_or_b32 v5, v7, s10, v5
	v_sub_u32_e32 v10, 0x3f1, v9
	v_or_b32_e32 v7, 0x1000, v5
	v_med3_i32 v10, v10, 0, 13
	v_lshrrev_b32_e32 v11, v10, v7
	v_lshlrev_b32_e32 v10, v10, v11
	v_cmp_ne_u32_e32 vcc, v10, v7
	v_cndmask_b32_e64 v7, 0, 1, vcc
	v_add_u32_e32 v9, 0xfffffc10, v9
	v_or_b32_e32 v7, v11, v7
	v_lshl_or_b32 v10, v9, 12, v5
	v_cmp_gt_i32_e32 vcc, 1, v9
	v_cndmask_b32_e32 v7, v10, v7, vcc
	v_and_b32_e32 v10, 7, v7
	v_lshrrev_b32_e32 v11, 16, v8
	v_cmp_lt_i32_e32 vcc, 5, v10
	v_cmp_eq_u32_e64 s[0:1], 3, v10
	v_mul_f16_sdwa v10, v149, v11 dst_sel:DWORD dst_unused:UNUSED_PAD src0_sel:WORD_1 src1_sel:DWORD
	v_fma_f16 v10, v149, v8, v10
	v_lshrrev_b32_e32 v7, 2, v7
	s_or_b64 vcc, s[0:1], vcc
	v_cvt_f32_f16_e32 v10, v10
	v_addc_co_u32_e32 v7, vcc, 0, v7, vcc
	v_cmp_gt_i32_e32 vcc, 31, v9
	v_cndmask_b32_e32 v7, v2, v7, vcc
	v_cmp_ne_u32_e32 vcc, 0, v5
	v_cndmask_b32_e64 v5, 0, 1, vcc
	v_cmp_eq_u32_e32 vcc, s11, v9
	v_cvt_f64_f32_e32 v[9:10], v10
	v_lshl_or_b32 v5, v5, 9, v2
	v_cndmask_b32_e32 v5, v7, v5, vcc
	v_lshrrev_b32_e32 v7, 16, v12
	v_mul_f64 v[9:10], v[9:10], s[2:3]
	v_and_or_b32 v5, v7, s6, v5
	v_and_b32_e32 v1, 0xffff, v1
	v_lshl_or_b32 v1, v5, 16, v1
	v_mov_b32_e32 v5, s9
	v_add_co_u32_e32 v3, vcc, s8, v3
	v_addc_co_u32_e32 v4, vcc, v4, v5, vcc
	global_store_dword v[3:4], v1, off
	v_and_or_b32 v1, v10, s7, v9
	v_cmp_ne_u32_e32 vcc, 0, v1
	v_cndmask_b32_e64 v1, 0, 1, vcc
	v_lshrrev_b32_e32 v5, 8, v10
	v_bfe_u32 v7, v10, 20, 11
	v_and_or_b32 v1, v5, s10, v1
	v_sub_u32_e32 v9, 0x3f1, v7
	v_or_b32_e32 v5, 0x1000, v1
	v_med3_i32 v9, v9, 0, 13
	v_lshrrev_b32_e32 v12, v9, v5
	v_lshlrev_b32_e32 v9, v9, v12
	v_mul_f16_sdwa v8, v149, v8 dst_sel:DWORD dst_unused:UNUSED_PAD src0_sel:WORD_1 src1_sel:DWORD
	v_cmp_ne_u32_e32 vcc, v9, v5
	v_fma_f16 v8, v149, v11, -v8
	v_cndmask_b32_e64 v5, 0, 1, vcc
	v_add_u32_e32 v9, 0xfffffc10, v7
	v_cvt_f32_f16_e32 v8, v8
	v_or_b32_e32 v5, v12, v5
	v_lshl_or_b32 v7, v9, 12, v1
	v_cmp_gt_i32_e32 vcc, 1, v9
	v_cndmask_b32_e32 v5, v7, v5, vcc
	v_and_b32_e32 v7, 7, v5
	v_cmp_lt_i32_e32 vcc, 5, v7
	v_cmp_eq_u32_e64 s[0:1], 3, v7
	v_cvt_f64_f32_e32 v[7:8], v8
	v_lshrrev_b32_e32 v5, 2, v5
	s_or_b64 vcc, s[0:1], vcc
	v_addc_co_u32_e32 v5, vcc, 0, v5, vcc
	v_mul_f64 v[7:8], v[7:8], s[2:3]
	v_cmp_gt_i32_e32 vcc, 31, v9
	v_cndmask_b32_e32 v5, v2, v5, vcc
	v_cmp_ne_u32_e32 vcc, 0, v1
	v_cndmask_b32_e64 v1, 0, 1, vcc
	v_lshl_or_b32 v1, v1, 9, v2
	v_cmp_eq_u32_e32 vcc, s11, v9
	v_cndmask_b32_e32 v1, v5, v1, vcc
	v_lshrrev_b32_e32 v5, 16, v10
	v_and_or_b32 v1, v5, s6, v1
	v_and_or_b32 v5, v8, s7, v7
	v_cmp_ne_u32_e32 vcc, 0, v5
	v_cndmask_b32_e64 v5, 0, 1, vcc
	v_lshrrev_b32_e32 v7, 8, v8
	v_bfe_u32 v9, v8, 20, 11
	v_and_or_b32 v5, v7, s10, v5
	v_sub_u32_e32 v10, 0x3f1, v9
	v_or_b32_e32 v7, 0x1000, v5
	v_med3_i32 v10, v10, 0, 13
	v_lshrrev_b32_e32 v11, v10, v7
	v_lshlrev_b32_e32 v10, v10, v11
	v_cmp_ne_u32_e32 vcc, v10, v7
	v_cndmask_b32_e64 v7, 0, 1, vcc
	v_or_b32_e32 v7, v11, v7
	v_add_u32_e32 v11, 0xfffffc10, v9
	v_lshl_or_b32 v9, v11, 12, v5
	v_cmp_gt_i32_e32 vcc, 1, v11
	v_cndmask_b32_e32 v7, v9, v7, vcc
	v_and_b32_e32 v9, 7, v7
	v_cmp_lt_i32_e32 vcc, 5, v9
	v_cmp_eq_u32_e64 s[0:1], 3, v9
	ds_read2_b32 v[9:10], v152 offset0:2 offset1:245
	v_lshrrev_b32_e32 v7, 2, v7
	s_or_b64 vcc, s[0:1], vcc
	v_addc_co_u32_e32 v7, vcc, 0, v7, vcc
	s_waitcnt lgkmcnt(0)
	v_lshrrev_b32_e32 v13, 16, v9
	v_mul_f16_sdwa v12, v146, v13 dst_sel:DWORD dst_unused:UNUSED_PAD src0_sel:WORD_1 src1_sel:DWORD
	v_fma_f16 v12, v146, v9, v12
	v_cvt_f32_f16_e32 v12, v12
	v_cmp_gt_i32_e32 vcc, 31, v11
	v_cndmask_b32_e32 v7, v2, v7, vcc
	v_cmp_ne_u32_e32 vcc, 0, v5
	v_cndmask_b32_e64 v5, 0, 1, vcc
	v_cmp_eq_u32_e32 vcc, s11, v11
	v_cvt_f64_f32_e32 v[11:12], v12
	v_lshl_or_b32 v5, v5, 9, v2
	v_cndmask_b32_e32 v5, v7, v5, vcc
	v_lshrrev_b32_e32 v7, 16, v8
	v_and_or_b32 v5, v7, s6, v5
	v_mul_f64 v[7:8], v[11:12], s[2:3]
	v_and_b32_e32 v1, 0xffff, v1
	v_lshl_or_b32 v1, v5, 16, v1
	v_mov_b32_e32 v5, s4
	v_add_co_u32_e32 v3, vcc, s5, v3
	v_addc_co_u32_e32 v4, vcc, v4, v5, vcc
	global_store_dword v[3:4], v1, off
	v_and_or_b32 v1, v8, s7, v7
	v_cmp_ne_u32_e32 vcc, 0, v1
	v_cndmask_b32_e64 v1, 0, 1, vcc
	v_lshrrev_b32_e32 v5, 8, v8
	v_bfe_u32 v7, v8, 20, 11
	v_and_or_b32 v1, v5, s10, v1
	v_sub_u32_e32 v11, 0x3f1, v7
	v_or_b32_e32 v5, 0x1000, v1
	v_med3_i32 v11, v11, 0, 13
	v_lshrrev_b32_e32 v12, v11, v5
	v_lshlrev_b32_e32 v11, v11, v12
	v_mul_f16_sdwa v9, v146, v9 dst_sel:DWORD dst_unused:UNUSED_PAD src0_sel:WORD_1 src1_sel:DWORD
	v_cmp_ne_u32_e32 vcc, v11, v5
	v_fma_f16 v9, v146, v13, -v9
	v_cndmask_b32_e64 v5, 0, 1, vcc
	v_add_u32_e32 v7, 0xfffffc10, v7
	v_cvt_f32_f16_e32 v9, v9
	v_or_b32_e32 v5, v12, v5
	v_lshl_or_b32 v11, v7, 12, v1
	v_cmp_gt_i32_e32 vcc, 1, v7
	v_cndmask_b32_e32 v5, v11, v5, vcc
	v_and_b32_e32 v11, 7, v5
	v_cmp_lt_i32_e32 vcc, 5, v11
	v_cmp_eq_u32_e64 s[0:1], 3, v11
	v_cvt_f64_f32_e32 v[11:12], v9
	v_lshrrev_b32_e32 v5, 2, v5
	s_or_b64 vcc, s[0:1], vcc
	v_addc_co_u32_e32 v5, vcc, 0, v5, vcc
	v_mul_f64 v[11:12], v[11:12], s[2:3]
	v_cmp_gt_i32_e32 vcc, 31, v7
	v_cndmask_b32_e32 v5, v2, v5, vcc
	v_cmp_ne_u32_e32 vcc, 0, v1
	v_cndmask_b32_e64 v1, 0, 1, vcc
	v_lshl_or_b32 v1, v1, 9, v2
	v_cmp_eq_u32_e32 vcc, s11, v7
	v_cndmask_b32_e32 v1, v5, v1, vcc
	v_lshrrev_b32_e32 v5, 16, v8
	v_and_or_b32 v1, v5, s6, v1
	v_and_or_b32 v5, v12, s7, v11
	v_cmp_ne_u32_e32 vcc, 0, v5
	v_cndmask_b32_e64 v5, 0, 1, vcc
	v_lshrrev_b32_e32 v7, 8, v12
	v_bfe_u32 v8, v12, 20, 11
	v_and_or_b32 v5, v7, s10, v5
	v_sub_u32_e32 v9, 0x3f1, v8
	v_or_b32_e32 v7, 0x1000, v5
	v_med3_i32 v9, v9, 0, 13
	v_lshrrev_b32_e32 v11, v9, v7
	v_lshlrev_b32_e32 v9, v9, v11
	v_cmp_ne_u32_e32 vcc, v9, v7
	v_cndmask_b32_e64 v7, 0, 1, vcc
	v_add_u32_e32 v8, 0xfffffc10, v8
	v_or_b32_e32 v7, v11, v7
	v_lshl_or_b32 v9, v8, 12, v5
	v_cmp_gt_i32_e32 vcc, 1, v8
	v_cndmask_b32_e32 v7, v9, v7, vcc
	v_and_b32_e32 v9, 7, v7
	v_cmp_lt_i32_e32 vcc, 5, v9
	v_cmp_eq_u32_e64 s[0:1], 3, v9
	v_lshrrev_b32_e32 v9, 16, v6
	v_lshrrev_b32_e32 v7, 2, v7
	s_or_b64 vcc, s[0:1], vcc
	v_mul_f16_sdwa v11, v145, v9 dst_sel:DWORD dst_unused:UNUSED_PAD src0_sel:WORD_1 src1_sel:DWORD
	v_addc_co_u32_e32 v7, vcc, 0, v7, vcc
	v_fma_f16 v11, v145, v6, v11
	v_cmp_gt_i32_e32 vcc, 31, v8
	v_cvt_f32_f16_e32 v11, v11
	v_cndmask_b32_e32 v7, v2, v7, vcc
	v_cmp_ne_u32_e32 vcc, 0, v5
	v_cndmask_b32_e64 v5, 0, 1, vcc
	v_lshl_or_b32 v5, v5, 9, v2
	v_cmp_eq_u32_e32 vcc, s11, v8
	v_cndmask_b32_e32 v5, v7, v5, vcc
	v_cvt_f64_f32_e32 v[7:8], v11
	v_lshrrev_b32_e32 v11, 16, v12
	v_and_or_b32 v5, v11, s6, v5
	v_and_b32_e32 v1, 0xffff, v1
	v_mul_f64 v[7:8], v[7:8], s[2:3]
	v_lshl_or_b32 v1, v5, 16, v1
	v_mov_b32_e32 v5, s4
	v_add_co_u32_e32 v3, vcc, s5, v3
	v_addc_co_u32_e32 v4, vcc, v4, v5, vcc
	global_store_dword v[3:4], v1, off
	v_and_or_b32 v1, v8, s7, v7
	v_cmp_ne_u32_e32 vcc, 0, v1
	v_cndmask_b32_e64 v1, 0, 1, vcc
	v_lshrrev_b32_e32 v5, 8, v8
	v_bfe_u32 v7, v8, 20, 11
	v_and_or_b32 v1, v5, s10, v1
	v_sub_u32_e32 v11, 0x3f1, v7
	v_or_b32_e32 v5, 0x1000, v1
	v_med3_i32 v11, v11, 0, 13
	v_lshrrev_b32_e32 v12, v11, v5
	v_mul_f16_sdwa v6, v145, v6 dst_sel:DWORD dst_unused:UNUSED_PAD src0_sel:WORD_1 src1_sel:DWORD
	v_lshlrev_b32_e32 v11, v11, v12
	v_fma_f16 v6, v145, v9, -v6
	v_cmp_ne_u32_e32 vcc, v11, v5
	v_cvt_f32_f16_e32 v6, v6
	v_cndmask_b32_e64 v5, 0, 1, vcc
	v_add_u32_e32 v7, 0xfffffc10, v7
	v_or_b32_e32 v5, v12, v5
	v_lshl_or_b32 v11, v7, 12, v1
	v_cmp_gt_i32_e32 vcc, 1, v7
	v_cndmask_b32_e32 v5, v11, v5, vcc
	v_and_b32_e32 v11, 7, v5
	v_lshrrev_b32_e32 v9, 2, v5
	v_cvt_f64_f32_e32 v[5:6], v6
	v_cmp_lt_i32_e32 vcc, 5, v11
	v_cmp_eq_u32_e64 s[0:1], 3, v11
	s_or_b64 vcc, s[0:1], vcc
	v_mul_f64 v[5:6], v[5:6], s[2:3]
	v_addc_co_u32_e32 v9, vcc, 0, v9, vcc
	v_cmp_gt_i32_e32 vcc, 31, v7
	v_cndmask_b32_e32 v9, v2, v9, vcc
	v_cmp_ne_u32_e32 vcc, 0, v1
	v_cndmask_b32_e64 v1, 0, 1, vcc
	v_lshl_or_b32 v1, v1, 9, v2
	v_cmp_eq_u32_e32 vcc, s11, v7
	v_and_or_b32 v5, v6, s7, v5
	v_cndmask_b32_e32 v1, v9, v1, vcc
	v_lshrrev_b32_e32 v7, 16, v8
	v_cmp_ne_u32_e32 vcc, 0, v5
	v_and_or_b32 v1, v7, s6, v1
	v_cndmask_b32_e64 v5, 0, 1, vcc
	v_lshrrev_b32_e32 v7, 8, v6
	v_bfe_u32 v8, v6, 20, 11
	v_and_or_b32 v5, v7, s10, v5
	v_sub_u32_e32 v9, 0x3f1, v8
	v_or_b32_e32 v7, 0x1000, v5
	v_med3_i32 v9, v9, 0, 13
	v_lshrrev_b32_e32 v11, v9, v7
	v_lshlrev_b32_e32 v9, v9, v11
	v_cmp_ne_u32_e32 vcc, v9, v7
	v_cndmask_b32_e64 v7, 0, 1, vcc
	v_add_u32_e32 v9, 0xfffffc10, v8
	v_or_b32_e32 v7, v11, v7
	v_lshl_or_b32 v8, v9, 12, v5
	v_cmp_gt_i32_e32 vcc, 1, v9
	v_cndmask_b32_e32 v7, v8, v7, vcc
	v_and_b32_e32 v8, 7, v7
	v_cmp_lt_i32_e32 vcc, 5, v8
	v_cmp_eq_u32_e64 s[0:1], 3, v8
	v_lshrrev_b32_e32 v7, 2, v7
	s_or_b64 vcc, s[0:1], vcc
	v_addc_co_u32_e32 v11, vcc, 0, v7, vcc
	ds_read2_b32 v[7:8], v147 offset0:10 offset1:253
	v_cmp_gt_i32_e32 vcc, 31, v9
	v_cndmask_b32_e32 v11, v2, v11, vcc
	v_cmp_ne_u32_e32 vcc, 0, v5
	v_cndmask_b32_e64 v5, 0, 1, vcc
	s_waitcnt lgkmcnt(0)
	v_lshrrev_b32_e32 v13, 16, v7
	v_mul_f16_sdwa v12, v143, v13 dst_sel:DWORD dst_unused:UNUSED_PAD src0_sel:WORD_1 src1_sel:DWORD
	v_fma_f16 v12, v143, v7, v12
	v_cvt_f32_f16_e32 v12, v12
	v_lshl_or_b32 v5, v5, 9, v2
	v_cmp_eq_u32_e32 vcc, s11, v9
	v_cndmask_b32_e32 v5, v11, v5, vcc
	v_cvt_f64_f32_e32 v[11:12], v12
	v_lshrrev_b32_e32 v6, 16, v6
	v_and_or_b32 v9, v6, s6, v5
	v_and_b32_e32 v1, 0xffff, v1
	v_mul_f64 v[5:6], v[11:12], s[2:3]
	v_lshl_or_b32 v1, v9, 16, v1
	v_mov_b32_e32 v9, s9
	v_add_co_u32_e32 v3, vcc, s8, v3
	v_addc_co_u32_e32 v4, vcc, v4, v9, vcc
	global_store_dword v[3:4], v1, off
	v_and_or_b32 v1, v6, s7, v5
	v_cmp_ne_u32_e32 vcc, 0, v1
	v_cndmask_b32_e64 v1, 0, 1, vcc
	v_lshrrev_b32_e32 v5, 8, v6
	v_bfe_u32 v9, v6, 20, 11
	v_and_or_b32 v1, v5, s10, v1
	v_sub_u32_e32 v11, 0x3f1, v9
	v_or_b32_e32 v5, 0x1000, v1
	v_med3_i32 v11, v11, 0, 13
	v_lshrrev_b32_e32 v12, v11, v5
	v_lshlrev_b32_e32 v11, v11, v12
	v_mul_f16_sdwa v7, v143, v7 dst_sel:DWORD dst_unused:UNUSED_PAD src0_sel:WORD_1 src1_sel:DWORD
	v_cmp_ne_u32_e32 vcc, v11, v5
	v_fma_f16 v7, v143, v13, -v7
	v_cndmask_b32_e64 v5, 0, 1, vcc
	v_add_u32_e32 v9, 0xfffffc10, v9
	v_cvt_f32_f16_e32 v7, v7
	v_or_b32_e32 v5, v12, v5
	v_lshl_or_b32 v11, v9, 12, v1
	v_cmp_gt_i32_e32 vcc, 1, v9
	v_cndmask_b32_e32 v5, v11, v5, vcc
	v_and_b32_e32 v11, 7, v5
	v_cmp_lt_i32_e32 vcc, 5, v11
	v_cmp_eq_u32_e64 s[0:1], 3, v11
	v_cvt_f64_f32_e32 v[11:12], v7
	v_lshrrev_b32_e32 v5, 2, v5
	s_or_b64 vcc, s[0:1], vcc
	v_addc_co_u32_e32 v5, vcc, 0, v5, vcc
	v_mul_f64 v[11:12], v[11:12], s[2:3]
	v_cmp_gt_i32_e32 vcc, 31, v9
	v_cndmask_b32_e32 v5, v2, v5, vcc
	v_cmp_ne_u32_e32 vcc, 0, v1
	v_cndmask_b32_e64 v1, 0, 1, vcc
	v_lshl_or_b32 v1, v1, 9, v2
	v_cmp_eq_u32_e32 vcc, s11, v9
	v_cndmask_b32_e32 v1, v5, v1, vcc
	v_lshrrev_b32_e32 v5, 16, v6
	v_and_or_b32 v1, v5, s6, v1
	v_and_or_b32 v5, v12, s7, v11
	v_cmp_ne_u32_e32 vcc, 0, v5
	v_cndmask_b32_e64 v5, 0, 1, vcc
	v_lshrrev_b32_e32 v6, 8, v12
	v_bfe_u32 v7, v12, 20, 11
	v_and_or_b32 v5, v6, s10, v5
	v_sub_u32_e32 v9, 0x3f1, v7
	v_or_b32_e32 v6, 0x1000, v5
	v_med3_i32 v9, v9, 0, 13
	v_lshrrev_b32_e32 v11, v9, v6
	v_lshlrev_b32_e32 v9, v9, v11
	v_cmp_ne_u32_e32 vcc, v9, v6
	v_cndmask_b32_e64 v6, 0, 1, vcc
	v_add_u32_e32 v7, 0xfffffc10, v7
	v_or_b32_e32 v6, v11, v6
	v_lshl_or_b32 v9, v7, 12, v5
	v_cmp_gt_i32_e32 vcc, 1, v7
	v_cndmask_b32_e32 v6, v9, v6, vcc
	v_and_b32_e32 v9, 7, v6
	v_cmp_lt_i32_e32 vcc, 5, v9
	v_cmp_eq_u32_e64 s[0:1], 3, v9
	v_lshrrev_b32_e32 v9, 16, v10
	v_lshrrev_b32_e32 v6, 2, v6
	s_or_b64 vcc, s[0:1], vcc
	v_mul_f16_sdwa v11, v141, v9 dst_sel:DWORD dst_unused:UNUSED_PAD src0_sel:WORD_1 src1_sel:DWORD
	v_addc_co_u32_e32 v6, vcc, 0, v6, vcc
	v_fma_f16 v11, v141, v10, v11
	v_cmp_gt_i32_e32 vcc, 31, v7
	v_cvt_f32_f16_e32 v11, v11
	v_cndmask_b32_e32 v6, v2, v6, vcc
	v_cmp_ne_u32_e32 vcc, 0, v5
	v_cndmask_b32_e64 v5, 0, 1, vcc
	v_lshl_or_b32 v5, v5, 9, v2
	v_cmp_eq_u32_e32 vcc, s11, v7
	v_cndmask_b32_e32 v7, v6, v5, vcc
	v_cvt_f64_f32_e32 v[5:6], v11
	v_lshrrev_b32_e32 v11, 16, v12
	v_and_or_b32 v7, v11, s6, v7
	v_and_b32_e32 v1, 0xffff, v1
	v_mul_f64 v[5:6], v[5:6], s[2:3]
	v_lshl_or_b32 v1, v7, 16, v1
	v_mov_b32_e32 v7, s4
	v_add_co_u32_e32 v3, vcc, s5, v3
	v_addc_co_u32_e32 v4, vcc, v4, v7, vcc
	global_store_dword v[3:4], v1, off
	v_and_or_b32 v1, v6, s7, v5
	v_cmp_ne_u32_e32 vcc, 0, v1
	v_cndmask_b32_e64 v1, 0, 1, vcc
	v_lshrrev_b32_e32 v5, 8, v6
	v_bfe_u32 v7, v6, 20, 11
	v_mul_f16_sdwa v10, v141, v10 dst_sel:DWORD dst_unused:UNUSED_PAD src0_sel:WORD_1 src1_sel:DWORD
	v_and_or_b32 v1, v5, s10, v1
	v_sub_u32_e32 v11, 0x3f1, v7
	v_fma_f16 v9, v141, v9, -v10
	v_or_b32_e32 v5, 0x1000, v1
	v_med3_i32 v11, v11, 0, 13
	v_cvt_f32_f16_e32 v9, v9
	v_lshrrev_b32_e32 v12, v11, v5
	v_lshlrev_b32_e32 v11, v11, v12
	v_cmp_ne_u32_e32 vcc, v11, v5
	v_cndmask_b32_e64 v5, 0, 1, vcc
	v_add_u32_e32 v7, 0xfffffc10, v7
	v_cvt_f64_f32_e32 v[9:10], v9
	v_or_b32_e32 v5, v12, v5
	v_lshl_or_b32 v11, v7, 12, v1
	v_cmp_gt_i32_e32 vcc, 1, v7
	v_cndmask_b32_e32 v5, v11, v5, vcc
	v_and_b32_e32 v11, 7, v5
	v_cmp_lt_i32_e32 vcc, 5, v11
	v_cmp_eq_u32_e64 s[0:1], 3, v11
	v_mul_f64 v[9:10], v[9:10], s[2:3]
	v_lshrrev_b32_e32 v5, 2, v5
	s_or_b64 vcc, s[0:1], vcc
	v_addc_co_u32_e32 v5, vcc, 0, v5, vcc
	v_cmp_gt_i32_e32 vcc, 31, v7
	v_cndmask_b32_e32 v5, v2, v5, vcc
	v_cmp_ne_u32_e32 vcc, 0, v1
	v_cndmask_b32_e64 v1, 0, 1, vcc
	v_lshl_or_b32 v1, v1, 9, v2
	v_cmp_eq_u32_e32 vcc, s11, v7
	v_cndmask_b32_e32 v1, v5, v1, vcc
	v_lshrrev_b32_e32 v5, 16, v6
	v_and_or_b32 v1, v5, s6, v1
	v_and_or_b32 v5, v10, s7, v9
	v_cmp_ne_u32_e32 vcc, 0, v5
	v_cndmask_b32_e64 v5, 0, 1, vcc
	v_lshrrev_b32_e32 v6, 8, v10
	v_and_or_b32 v7, v6, s10, v5
	v_bfe_u32 v6, v10, 20, 11
	v_sub_u32_e32 v9, 0x3f1, v6
	v_or_b32_e32 v5, 0x1000, v7
	v_med3_i32 v9, v9, 0, 13
	v_lshrrev_b32_e32 v11, v9, v5
	v_lshlrev_b32_e32 v9, v9, v11
	v_cmp_ne_u32_e32 vcc, v9, v5
	v_cndmask_b32_e64 v5, 0, 1, vcc
	v_add_u32_e32 v9, 0xfffffc10, v6
	v_or_b32_e32 v5, v11, v5
	v_lshl_or_b32 v6, v9, 12, v7
	v_cmp_gt_i32_e32 vcc, 1, v9
	v_cndmask_b32_e32 v5, v6, v5, vcc
	v_and_b32_e32 v6, 7, v5
	v_cmp_lt_i32_e32 vcc, 5, v6
	v_cmp_eq_u32_e64 s[0:1], 3, v6
	v_lshrrev_b32_e32 v5, 2, v5
	s_or_b64 vcc, s[0:1], vcc
	v_addc_co_u32_e32 v11, vcc, 0, v5, vcc
	ds_read2_b32 v[5:6], v142 offset0:2 offset1:245
	v_cmp_gt_i32_e32 vcc, 31, v9
	v_cndmask_b32_e32 v11, v2, v11, vcc
	v_cmp_ne_u32_e32 vcc, 0, v7
	v_cndmask_b32_e64 v7, 0, 1, vcc
	s_waitcnt lgkmcnt(0)
	v_lshrrev_b32_e32 v13, 16, v5
	v_mul_f16_sdwa v12, v139, v13 dst_sel:DWORD dst_unused:UNUSED_PAD src0_sel:WORD_1 src1_sel:DWORD
	v_fma_f16 v12, v139, v5, v12
	v_cvt_f32_f16_e32 v12, v12
	v_lshl_or_b32 v7, v7, 9, v2
	v_cmp_eq_u32_e32 vcc, s11, v9
	v_cndmask_b32_e32 v7, v11, v7, vcc
	v_cvt_f64_f32_e32 v[11:12], v12
	v_lshrrev_b32_e32 v9, 16, v10
	v_and_or_b32 v7, v9, s6, v7
	v_and_b32_e32 v1, 0xffff, v1
	v_mul_f64 v[9:10], v[11:12], s[2:3]
	v_lshl_or_b32 v1, v7, 16, v1
	v_mov_b32_e32 v7, s4
	v_add_co_u32_e32 v3, vcc, s5, v3
	v_addc_co_u32_e32 v4, vcc, v4, v7, vcc
	global_store_dword v[3:4], v1, off
	v_and_or_b32 v1, v10, s7, v9
	v_cmp_ne_u32_e32 vcc, 0, v1
	v_cndmask_b32_e64 v1, 0, 1, vcc
	v_lshrrev_b32_e32 v7, 8, v10
	v_bfe_u32 v9, v10, 20, 11
	v_and_or_b32 v1, v7, s10, v1
	v_sub_u32_e32 v11, 0x3f1, v9
	v_or_b32_e32 v7, 0x1000, v1
	v_med3_i32 v11, v11, 0, 13
	v_lshrrev_b32_e32 v12, v11, v7
	v_lshlrev_b32_e32 v11, v11, v12
	v_mul_f16_sdwa v5, v139, v5 dst_sel:DWORD dst_unused:UNUSED_PAD src0_sel:WORD_1 src1_sel:DWORD
	v_cmp_ne_u32_e32 vcc, v11, v7
	v_fma_f16 v5, v139, v13, -v5
	v_cndmask_b32_e64 v7, 0, 1, vcc
	v_add_u32_e32 v9, 0xfffffc10, v9
	v_cvt_f32_f16_e32 v5, v5
	v_or_b32_e32 v7, v12, v7
	v_lshl_or_b32 v11, v9, 12, v1
	v_cmp_gt_i32_e32 vcc, 1, v9
	v_cndmask_b32_e32 v7, v11, v7, vcc
	v_and_b32_e32 v11, 7, v7
	v_cmp_lt_i32_e32 vcc, 5, v11
	v_cmp_eq_u32_e64 s[0:1], 3, v11
	v_cvt_f64_f32_e32 v[11:12], v5
	v_lshrrev_b32_e32 v7, 2, v7
	s_or_b64 vcc, s[0:1], vcc
	v_addc_co_u32_e32 v5, vcc, 0, v7, vcc
	v_mul_f64 v[11:12], v[11:12], s[2:3]
	v_cmp_gt_i32_e32 vcc, 31, v9
	v_cndmask_b32_e32 v5, v2, v5, vcc
	v_cmp_ne_u32_e32 vcc, 0, v1
	v_cndmask_b32_e64 v1, 0, 1, vcc
	v_lshl_or_b32 v1, v1, 9, v2
	v_cmp_eq_u32_e32 vcc, s11, v9
	v_cndmask_b32_e32 v1, v5, v1, vcc
	v_lshrrev_b32_e32 v5, 16, v10
	v_and_or_b32 v1, v5, s6, v1
	v_and_or_b32 v5, v12, s7, v11
	v_cmp_ne_u32_e32 vcc, 0, v5
	v_cndmask_b32_e64 v5, 0, 1, vcc
	v_lshrrev_b32_e32 v7, 8, v12
	v_bfe_u32 v9, v12, 20, 11
	v_and_or_b32 v5, v7, s10, v5
	v_sub_u32_e32 v10, 0x3f1, v9
	v_or_b32_e32 v7, 0x1000, v5
	v_med3_i32 v10, v10, 0, 13
	v_lshrrev_b32_e32 v11, v10, v7
	v_lshlrev_b32_e32 v10, v10, v11
	v_cmp_ne_u32_e32 vcc, v10, v7
	v_cndmask_b32_e64 v7, 0, 1, vcc
	v_add_u32_e32 v9, 0xfffffc10, v9
	v_or_b32_e32 v7, v11, v7
	v_lshl_or_b32 v10, v9, 12, v5
	v_cmp_gt_i32_e32 vcc, 1, v9
	v_cndmask_b32_e32 v7, v10, v7, vcc
	v_and_b32_e32 v10, 7, v7
	v_lshrrev_b32_e32 v11, 16, v8
	v_cmp_lt_i32_e32 vcc, 5, v10
	v_cmp_eq_u32_e64 s[0:1], 3, v10
	v_mul_f16_sdwa v10, v138, v11 dst_sel:DWORD dst_unused:UNUSED_PAD src0_sel:WORD_1 src1_sel:DWORD
	v_fma_f16 v10, v138, v8, v10
	v_lshrrev_b32_e32 v7, 2, v7
	s_or_b64 vcc, s[0:1], vcc
	v_cvt_f32_f16_e32 v10, v10
	v_addc_co_u32_e32 v7, vcc, 0, v7, vcc
	v_cmp_gt_i32_e32 vcc, 31, v9
	v_cndmask_b32_e32 v7, v2, v7, vcc
	v_cmp_ne_u32_e32 vcc, 0, v5
	v_cndmask_b32_e64 v5, 0, 1, vcc
	v_cmp_eq_u32_e32 vcc, s11, v9
	v_cvt_f64_f32_e32 v[9:10], v10
	v_lshl_or_b32 v5, v5, 9, v2
	v_cndmask_b32_e32 v5, v7, v5, vcc
	v_lshrrev_b32_e32 v7, 16, v12
	v_mul_f64 v[9:10], v[9:10], s[2:3]
	v_and_or_b32 v5, v7, s6, v5
	v_and_b32_e32 v1, 0xffff, v1
	v_lshl_or_b32 v1, v5, 16, v1
	v_mov_b32_e32 v5, s9
	v_add_co_u32_e32 v3, vcc, s8, v3
	v_addc_co_u32_e32 v4, vcc, v4, v5, vcc
	global_store_dword v[3:4], v1, off
	v_and_or_b32 v1, v10, s7, v9
	v_cmp_ne_u32_e32 vcc, 0, v1
	v_cndmask_b32_e64 v1, 0, 1, vcc
	v_lshrrev_b32_e32 v5, 8, v10
	v_bfe_u32 v7, v10, 20, 11
	v_and_or_b32 v1, v5, s10, v1
	v_sub_u32_e32 v9, 0x3f1, v7
	v_or_b32_e32 v5, 0x1000, v1
	v_med3_i32 v9, v9, 0, 13
	v_lshrrev_b32_e32 v12, v9, v5
	v_lshlrev_b32_e32 v9, v9, v12
	v_mul_f16_sdwa v8, v138, v8 dst_sel:DWORD dst_unused:UNUSED_PAD src0_sel:WORD_1 src1_sel:DWORD
	v_cmp_ne_u32_e32 vcc, v9, v5
	v_fma_f16 v8, v138, v11, -v8
	v_cndmask_b32_e64 v5, 0, 1, vcc
	v_add_u32_e32 v9, 0xfffffc10, v7
	v_cvt_f32_f16_e32 v8, v8
	v_or_b32_e32 v5, v12, v5
	v_lshl_or_b32 v7, v9, 12, v1
	v_cmp_gt_i32_e32 vcc, 1, v9
	v_cndmask_b32_e32 v5, v7, v5, vcc
	v_and_b32_e32 v7, 7, v5
	v_cmp_lt_i32_e32 vcc, 5, v7
	v_cmp_eq_u32_e64 s[0:1], 3, v7
	v_cvt_f64_f32_e32 v[7:8], v8
	v_lshrrev_b32_e32 v5, 2, v5
	s_or_b64 vcc, s[0:1], vcc
	v_addc_co_u32_e32 v5, vcc, 0, v5, vcc
	v_mul_f64 v[7:8], v[7:8], s[2:3]
	v_cmp_gt_i32_e32 vcc, 31, v9
	v_cndmask_b32_e32 v5, v2, v5, vcc
	v_cmp_ne_u32_e32 vcc, 0, v1
	v_cndmask_b32_e64 v1, 0, 1, vcc
	v_lshl_or_b32 v1, v1, 9, v2
	v_cmp_eq_u32_e32 vcc, s11, v9
	v_cndmask_b32_e32 v1, v5, v1, vcc
	v_lshrrev_b32_e32 v5, 16, v10
	v_and_or_b32 v1, v5, s6, v1
	v_and_or_b32 v5, v8, s7, v7
	v_cmp_ne_u32_e32 vcc, 0, v5
	v_cndmask_b32_e64 v5, 0, 1, vcc
	v_lshrrev_b32_e32 v7, 8, v8
	v_bfe_u32 v9, v8, 20, 11
	v_and_or_b32 v5, v7, s10, v5
	v_sub_u32_e32 v10, 0x3f1, v9
	v_or_b32_e32 v7, 0x1000, v5
	v_med3_i32 v10, v10, 0, 13
	v_lshrrev_b32_e32 v11, v10, v7
	v_lshlrev_b32_e32 v10, v10, v11
	v_cmp_ne_u32_e32 vcc, v10, v7
	v_cndmask_b32_e64 v7, 0, 1, vcc
	v_or_b32_e32 v7, v11, v7
	v_add_u32_e32 v11, 0xfffffc10, v9
	v_lshl_or_b32 v9, v11, 12, v5
	v_cmp_gt_i32_e32 vcc, 1, v11
	v_cndmask_b32_e32 v7, v9, v7, vcc
	v_and_b32_e32 v9, 7, v7
	v_cmp_lt_i32_e32 vcc, 5, v9
	v_cmp_eq_u32_e64 s[0:1], 3, v9
	ds_read2_b32 v[9:10], v140 offset0:8 offset1:251
	v_lshrrev_b32_e32 v7, 2, v7
	s_or_b64 vcc, s[0:1], vcc
	v_addc_co_u32_e32 v7, vcc, 0, v7, vcc
	s_waitcnt lgkmcnt(0)
	v_lshrrev_b32_e32 v13, 16, v9
	v_mul_f16_sdwa v12, v137, v13 dst_sel:DWORD dst_unused:UNUSED_PAD src0_sel:WORD_1 src1_sel:DWORD
	v_fma_f16 v12, v137, v9, v12
	v_cvt_f32_f16_e32 v12, v12
	v_cmp_gt_i32_e32 vcc, 31, v11
	v_cndmask_b32_e32 v7, v2, v7, vcc
	v_cmp_ne_u32_e32 vcc, 0, v5
	v_cndmask_b32_e64 v5, 0, 1, vcc
	v_cmp_eq_u32_e32 vcc, s11, v11
	v_cvt_f64_f32_e32 v[11:12], v12
	v_lshl_or_b32 v5, v5, 9, v2
	v_cndmask_b32_e32 v5, v7, v5, vcc
	v_lshrrev_b32_e32 v7, 16, v8
	v_and_or_b32 v5, v7, s6, v5
	v_mul_f64 v[7:8], v[11:12], s[2:3]
	v_and_b32_e32 v1, 0xffff, v1
	v_lshl_or_b32 v1, v5, 16, v1
	v_mov_b32_e32 v5, s4
	v_add_co_u32_e32 v3, vcc, s5, v3
	v_addc_co_u32_e32 v4, vcc, v4, v5, vcc
	global_store_dword v[3:4], v1, off
	v_and_or_b32 v1, v8, s7, v7
	v_cmp_ne_u32_e32 vcc, 0, v1
	v_cndmask_b32_e64 v1, 0, 1, vcc
	v_lshrrev_b32_e32 v5, 8, v8
	v_bfe_u32 v7, v8, 20, 11
	v_and_or_b32 v1, v5, s10, v1
	v_sub_u32_e32 v11, 0x3f1, v7
	v_or_b32_e32 v5, 0x1000, v1
	v_med3_i32 v11, v11, 0, 13
	v_lshrrev_b32_e32 v12, v11, v5
	v_lshlrev_b32_e32 v11, v11, v12
	v_mul_f16_sdwa v9, v137, v9 dst_sel:DWORD dst_unused:UNUSED_PAD src0_sel:WORD_1 src1_sel:DWORD
	v_cmp_ne_u32_e32 vcc, v11, v5
	v_fma_f16 v9, v137, v13, -v9
	v_cndmask_b32_e64 v5, 0, 1, vcc
	v_add_u32_e32 v7, 0xfffffc10, v7
	v_cvt_f32_f16_e32 v9, v9
	v_or_b32_e32 v5, v12, v5
	v_lshl_or_b32 v11, v7, 12, v1
	v_cmp_gt_i32_e32 vcc, 1, v7
	v_cndmask_b32_e32 v5, v11, v5, vcc
	v_and_b32_e32 v11, 7, v5
	v_cmp_lt_i32_e32 vcc, 5, v11
	v_cmp_eq_u32_e64 s[0:1], 3, v11
	v_cvt_f64_f32_e32 v[11:12], v9
	v_lshrrev_b32_e32 v5, 2, v5
	s_or_b64 vcc, s[0:1], vcc
	v_addc_co_u32_e32 v5, vcc, 0, v5, vcc
	v_mul_f64 v[11:12], v[11:12], s[2:3]
	v_cmp_gt_i32_e32 vcc, 31, v7
	v_cndmask_b32_e32 v5, v2, v5, vcc
	v_cmp_ne_u32_e32 vcc, 0, v1
	v_cndmask_b32_e64 v1, 0, 1, vcc
	v_lshl_or_b32 v1, v1, 9, v2
	v_cmp_eq_u32_e32 vcc, s11, v7
	v_cndmask_b32_e32 v1, v5, v1, vcc
	v_lshrrev_b32_e32 v5, 16, v8
	v_and_or_b32 v1, v5, s6, v1
	v_and_or_b32 v5, v12, s7, v11
	v_cmp_ne_u32_e32 vcc, 0, v5
	v_cndmask_b32_e64 v5, 0, 1, vcc
	v_lshrrev_b32_e32 v7, 8, v12
	v_bfe_u32 v8, v12, 20, 11
	v_and_or_b32 v5, v7, s10, v5
	v_sub_u32_e32 v9, 0x3f1, v8
	v_or_b32_e32 v7, 0x1000, v5
	v_med3_i32 v9, v9, 0, 13
	v_lshrrev_b32_e32 v11, v9, v7
	v_lshlrev_b32_e32 v9, v9, v11
	v_cmp_ne_u32_e32 vcc, v9, v7
	v_cndmask_b32_e64 v7, 0, 1, vcc
	v_add_u32_e32 v8, 0xfffffc10, v8
	v_or_b32_e32 v7, v11, v7
	v_lshl_or_b32 v9, v8, 12, v5
	v_cmp_gt_i32_e32 vcc, 1, v8
	v_cndmask_b32_e32 v7, v9, v7, vcc
	v_and_b32_e32 v9, 7, v7
	v_cmp_lt_i32_e32 vcc, 5, v9
	v_cmp_eq_u32_e64 s[0:1], 3, v9
	v_lshrrev_b32_e32 v9, 16, v6
	v_lshrrev_b32_e32 v7, 2, v7
	s_or_b64 vcc, s[0:1], vcc
	v_mul_f16_sdwa v11, v135, v9 dst_sel:DWORD dst_unused:UNUSED_PAD src0_sel:WORD_1 src1_sel:DWORD
	v_addc_co_u32_e32 v7, vcc, 0, v7, vcc
	v_fma_f16 v11, v135, v6, v11
	v_cmp_gt_i32_e32 vcc, 31, v8
	v_cvt_f32_f16_e32 v11, v11
	v_cndmask_b32_e32 v7, v2, v7, vcc
	v_cmp_ne_u32_e32 vcc, 0, v5
	v_cndmask_b32_e64 v5, 0, 1, vcc
	v_lshl_or_b32 v5, v5, 9, v2
	v_cmp_eq_u32_e32 vcc, s11, v8
	v_cndmask_b32_e32 v5, v7, v5, vcc
	v_cvt_f64_f32_e32 v[7:8], v11
	v_lshrrev_b32_e32 v11, 16, v12
	v_and_or_b32 v5, v11, s6, v5
	v_and_b32_e32 v1, 0xffff, v1
	v_mul_f64 v[7:8], v[7:8], s[2:3]
	v_lshl_or_b32 v1, v5, 16, v1
	v_mov_b32_e32 v5, s4
	v_add_co_u32_e32 v3, vcc, s5, v3
	v_addc_co_u32_e32 v4, vcc, v4, v5, vcc
	global_store_dword v[3:4], v1, off
	v_and_or_b32 v1, v8, s7, v7
	v_cmp_ne_u32_e32 vcc, 0, v1
	v_cndmask_b32_e64 v1, 0, 1, vcc
	v_lshrrev_b32_e32 v5, 8, v8
	v_bfe_u32 v7, v8, 20, 11
	v_and_or_b32 v1, v5, s10, v1
	v_sub_u32_e32 v11, 0x3f1, v7
	v_or_b32_e32 v5, 0x1000, v1
	v_med3_i32 v11, v11, 0, 13
	v_lshrrev_b32_e32 v12, v11, v5
	v_mul_f16_sdwa v6, v135, v6 dst_sel:DWORD dst_unused:UNUSED_PAD src0_sel:WORD_1 src1_sel:DWORD
	v_lshlrev_b32_e32 v11, v11, v12
	v_fma_f16 v6, v135, v9, -v6
	v_cmp_ne_u32_e32 vcc, v11, v5
	v_cvt_f32_f16_e32 v6, v6
	v_cndmask_b32_e64 v5, 0, 1, vcc
	v_add_u32_e32 v7, 0xfffffc10, v7
	v_or_b32_e32 v5, v12, v5
	v_lshl_or_b32 v11, v7, 12, v1
	v_cmp_gt_i32_e32 vcc, 1, v7
	v_cndmask_b32_e32 v5, v11, v5, vcc
	v_and_b32_e32 v11, 7, v5
	v_lshrrev_b32_e32 v9, 2, v5
	v_cvt_f64_f32_e32 v[5:6], v6
	v_cmp_lt_i32_e32 vcc, 5, v11
	v_cmp_eq_u32_e64 s[0:1], 3, v11
	s_or_b64 vcc, s[0:1], vcc
	v_mul_f64 v[5:6], v[5:6], s[2:3]
	v_addc_co_u32_e32 v9, vcc, 0, v9, vcc
	v_cmp_gt_i32_e32 vcc, 31, v7
	v_cndmask_b32_e32 v9, v2, v9, vcc
	v_cmp_ne_u32_e32 vcc, 0, v1
	v_cndmask_b32_e64 v1, 0, 1, vcc
	v_lshl_or_b32 v1, v1, 9, v2
	v_cmp_eq_u32_e32 vcc, s11, v7
	v_and_or_b32 v5, v6, s7, v5
	v_cndmask_b32_e32 v1, v9, v1, vcc
	v_lshrrev_b32_e32 v7, 16, v8
	v_cmp_ne_u32_e32 vcc, 0, v5
	v_and_or_b32 v1, v7, s6, v1
	v_cndmask_b32_e64 v5, 0, 1, vcc
	v_lshrrev_b32_e32 v7, 8, v6
	v_bfe_u32 v8, v6, 20, 11
	v_and_or_b32 v5, v7, s10, v5
	v_sub_u32_e32 v9, 0x3f1, v8
	v_or_b32_e32 v7, 0x1000, v5
	v_med3_i32 v9, v9, 0, 13
	v_lshrrev_b32_e32 v11, v9, v7
	v_lshlrev_b32_e32 v9, v9, v11
	v_cmp_ne_u32_e32 vcc, v9, v7
	v_cndmask_b32_e64 v7, 0, 1, vcc
	v_add_u32_e32 v9, 0xfffffc10, v8
	v_or_b32_e32 v7, v11, v7
	v_lshl_or_b32 v8, v9, 12, v5
	v_cmp_gt_i32_e32 vcc, 1, v9
	v_cndmask_b32_e32 v7, v8, v7, vcc
	v_and_b32_e32 v8, 7, v7
	v_cmp_lt_i32_e32 vcc, 5, v8
	v_cmp_eq_u32_e64 s[0:1], 3, v8
	v_lshrrev_b32_e32 v7, 2, v7
	s_or_b64 vcc, s[0:1], vcc
	v_addc_co_u32_e32 v11, vcc, 0, v7, vcc
	ds_read2_b32 v[7:8], v136 offset1:243
	v_cmp_gt_i32_e32 vcc, 31, v9
	v_cndmask_b32_e32 v11, v2, v11, vcc
	v_cmp_ne_u32_e32 vcc, 0, v5
	v_cndmask_b32_e64 v5, 0, 1, vcc
	s_waitcnt lgkmcnt(0)
	v_lshrrev_b32_e32 v13, 16, v7
	v_mul_f16_sdwa v12, v134, v13 dst_sel:DWORD dst_unused:UNUSED_PAD src0_sel:WORD_1 src1_sel:DWORD
	v_fma_f16 v12, v134, v7, v12
	v_cvt_f32_f16_e32 v12, v12
	v_lshl_or_b32 v5, v5, 9, v2
	v_cmp_eq_u32_e32 vcc, s11, v9
	v_cndmask_b32_e32 v5, v11, v5, vcc
	v_cvt_f64_f32_e32 v[11:12], v12
	v_lshrrev_b32_e32 v6, 16, v6
	v_and_or_b32 v9, v6, s6, v5
	v_and_b32_e32 v1, 0xffff, v1
	v_mul_f64 v[5:6], v[11:12], s[2:3]
	v_lshl_or_b32 v1, v9, 16, v1
	v_mov_b32_e32 v9, s9
	v_add_co_u32_e32 v3, vcc, s8, v3
	v_addc_co_u32_e32 v4, vcc, v4, v9, vcc
	global_store_dword v[3:4], v1, off
	v_and_or_b32 v1, v6, s7, v5
	v_cmp_ne_u32_e32 vcc, 0, v1
	v_cndmask_b32_e64 v1, 0, 1, vcc
	v_lshrrev_b32_e32 v5, 8, v6
	v_bfe_u32 v9, v6, 20, 11
	v_and_or_b32 v1, v5, s10, v1
	v_sub_u32_e32 v11, 0x3f1, v9
	v_or_b32_e32 v5, 0x1000, v1
	v_med3_i32 v11, v11, 0, 13
	v_lshrrev_b32_e32 v12, v11, v5
	v_lshlrev_b32_e32 v11, v11, v12
	v_mul_f16_sdwa v7, v134, v7 dst_sel:DWORD dst_unused:UNUSED_PAD src0_sel:WORD_1 src1_sel:DWORD
	v_cmp_ne_u32_e32 vcc, v11, v5
	v_fma_f16 v7, v134, v13, -v7
	v_cndmask_b32_e64 v5, 0, 1, vcc
	v_add_u32_e32 v9, 0xfffffc10, v9
	v_cvt_f32_f16_e32 v7, v7
	v_or_b32_e32 v5, v12, v5
	v_lshl_or_b32 v11, v9, 12, v1
	v_cmp_gt_i32_e32 vcc, 1, v9
	v_cndmask_b32_e32 v5, v11, v5, vcc
	v_and_b32_e32 v11, 7, v5
	v_cmp_lt_i32_e32 vcc, 5, v11
	v_cmp_eq_u32_e64 s[0:1], 3, v11
	v_cvt_f64_f32_e32 v[11:12], v7
	v_lshrrev_b32_e32 v5, 2, v5
	s_or_b64 vcc, s[0:1], vcc
	v_addc_co_u32_e32 v5, vcc, 0, v5, vcc
	v_mul_f64 v[11:12], v[11:12], s[2:3]
	v_cmp_gt_i32_e32 vcc, 31, v9
	v_cndmask_b32_e32 v5, v2, v5, vcc
	v_cmp_ne_u32_e32 vcc, 0, v1
	v_cndmask_b32_e64 v1, 0, 1, vcc
	v_lshl_or_b32 v1, v1, 9, v2
	v_cmp_eq_u32_e32 vcc, s11, v9
	v_cndmask_b32_e32 v1, v5, v1, vcc
	v_lshrrev_b32_e32 v5, 16, v6
	v_and_or_b32 v1, v5, s6, v1
	v_and_or_b32 v5, v12, s7, v11
	v_cmp_ne_u32_e32 vcc, 0, v5
	v_cndmask_b32_e64 v5, 0, 1, vcc
	v_lshrrev_b32_e32 v6, 8, v12
	v_bfe_u32 v7, v12, 20, 11
	v_and_or_b32 v5, v6, s10, v5
	v_sub_u32_e32 v9, 0x3f1, v7
	v_or_b32_e32 v6, 0x1000, v5
	v_med3_i32 v9, v9, 0, 13
	v_lshrrev_b32_e32 v11, v9, v6
	v_lshlrev_b32_e32 v9, v9, v11
	v_cmp_ne_u32_e32 vcc, v9, v6
	v_cndmask_b32_e64 v6, 0, 1, vcc
	v_add_u32_e32 v7, 0xfffffc10, v7
	v_or_b32_e32 v6, v11, v6
	v_lshl_or_b32 v9, v7, 12, v5
	v_cmp_gt_i32_e32 vcc, 1, v7
	v_cndmask_b32_e32 v6, v9, v6, vcc
	v_and_b32_e32 v9, 7, v6
	v_cmp_lt_i32_e32 vcc, 5, v9
	v_cmp_eq_u32_e64 s[0:1], 3, v9
	v_lshrrev_b32_e32 v9, 16, v10
	v_lshrrev_b32_e32 v6, 2, v6
	s_or_b64 vcc, s[0:1], vcc
	v_mul_f16_sdwa v11, v133, v9 dst_sel:DWORD dst_unused:UNUSED_PAD src0_sel:WORD_1 src1_sel:DWORD
	v_addc_co_u32_e32 v6, vcc, 0, v6, vcc
	v_fma_f16 v11, v133, v10, v11
	v_cmp_gt_i32_e32 vcc, 31, v7
	v_cvt_f32_f16_e32 v11, v11
	v_cndmask_b32_e32 v6, v2, v6, vcc
	v_cmp_ne_u32_e32 vcc, 0, v5
	v_cndmask_b32_e64 v5, 0, 1, vcc
	v_lshl_or_b32 v5, v5, 9, v2
	v_cmp_eq_u32_e32 vcc, s11, v7
	v_cndmask_b32_e32 v7, v6, v5, vcc
	v_cvt_f64_f32_e32 v[5:6], v11
	v_lshrrev_b32_e32 v11, 16, v12
	v_and_or_b32 v7, v11, s6, v7
	v_and_b32_e32 v1, 0xffff, v1
	v_mul_f64 v[5:6], v[5:6], s[2:3]
	v_lshl_or_b32 v1, v7, 16, v1
	v_mov_b32_e32 v7, s4
	v_add_co_u32_e32 v3, vcc, s5, v3
	v_addc_co_u32_e32 v4, vcc, v4, v7, vcc
	global_store_dword v[3:4], v1, off
	v_and_or_b32 v1, v6, s7, v5
	v_cmp_ne_u32_e32 vcc, 0, v1
	v_cndmask_b32_e64 v1, 0, 1, vcc
	v_lshrrev_b32_e32 v5, 8, v6
	v_bfe_u32 v7, v6, 20, 11
	v_mul_f16_sdwa v10, v133, v10 dst_sel:DWORD dst_unused:UNUSED_PAD src0_sel:WORD_1 src1_sel:DWORD
	v_and_or_b32 v1, v5, s10, v1
	v_sub_u32_e32 v11, 0x3f1, v7
	v_fma_f16 v9, v133, v9, -v10
	v_or_b32_e32 v5, 0x1000, v1
	v_med3_i32 v11, v11, 0, 13
	v_cvt_f32_f16_e32 v9, v9
	v_lshrrev_b32_e32 v12, v11, v5
	v_lshlrev_b32_e32 v11, v11, v12
	v_cmp_ne_u32_e32 vcc, v11, v5
	v_cndmask_b32_e64 v5, 0, 1, vcc
	v_add_u32_e32 v7, 0xfffffc10, v7
	v_cvt_f64_f32_e32 v[9:10], v9
	v_or_b32_e32 v5, v12, v5
	v_lshl_or_b32 v11, v7, 12, v1
	v_cmp_gt_i32_e32 vcc, 1, v7
	v_cndmask_b32_e32 v5, v11, v5, vcc
	v_and_b32_e32 v11, 7, v5
	v_cmp_lt_i32_e32 vcc, 5, v11
	v_cmp_eq_u32_e64 s[0:1], 3, v11
	v_mul_f64 v[9:10], v[9:10], s[2:3]
	v_lshrrev_b32_e32 v5, 2, v5
	s_or_b64 vcc, s[0:1], vcc
	v_addc_co_u32_e32 v5, vcc, 0, v5, vcc
	v_cmp_gt_i32_e32 vcc, 31, v7
	v_cndmask_b32_e32 v5, v2, v5, vcc
	v_cmp_ne_u32_e32 vcc, 0, v1
	v_cndmask_b32_e64 v1, 0, 1, vcc
	v_lshl_or_b32 v1, v1, 9, v2
	v_cmp_eq_u32_e32 vcc, s11, v7
	v_cndmask_b32_e32 v1, v5, v1, vcc
	v_lshrrev_b32_e32 v5, 16, v6
	v_and_or_b32 v1, v5, s6, v1
	v_and_or_b32 v5, v10, s7, v9
	v_cmp_ne_u32_e32 vcc, 0, v5
	v_cndmask_b32_e64 v5, 0, 1, vcc
	v_lshrrev_b32_e32 v6, 8, v10
	v_bfe_u32 v7, v10, 20, 11
	v_and_or_b32 v5, v6, s10, v5
	v_sub_u32_e32 v9, 0x3f1, v7
	v_or_b32_e32 v6, 0x1000, v5
	v_med3_i32 v9, v9, 0, 13
	v_lshrrev_b32_e32 v11, v9, v6
	v_lshlrev_b32_e32 v9, v9, v11
	v_cmp_ne_u32_e32 vcc, v9, v6
	v_cndmask_b32_e64 v6, 0, 1, vcc
	v_add_u32_e32 v7, 0xfffffc10, v7
	v_or_b32_e32 v6, v11, v6
	v_lshl_or_b32 v9, v7, 12, v5
	v_cmp_gt_i32_e32 vcc, 1, v7
	v_cndmask_b32_e32 v6, v9, v6, vcc
	v_and_b32_e32 v9, 7, v6
	v_cmp_lt_i32_e32 vcc, 5, v9
	v_cmp_eq_u32_e64 s[0:1], 3, v9
	v_lshrrev_b32_e32 v9, 16, v0
	v_lshrrev_b32_e32 v6, 2, v6
	s_or_b64 vcc, s[0:1], vcc
	v_mul_f16_sdwa v11, v132, v9 dst_sel:DWORD dst_unused:UNUSED_PAD src0_sel:WORD_1 src1_sel:DWORD
	v_addc_co_u32_e32 v6, vcc, 0, v6, vcc
	v_fma_f16 v11, v132, v0, v11
	v_cmp_gt_i32_e32 vcc, 31, v7
	v_cvt_f32_f16_e32 v11, v11
	v_cndmask_b32_e32 v6, v2, v6, vcc
	v_cmp_ne_u32_e32 vcc, 0, v5
	v_cndmask_b32_e64 v5, 0, 1, vcc
	v_lshl_or_b32 v5, v5, 9, v2
	v_cmp_eq_u32_e32 vcc, s11, v7
	v_cndmask_b32_e32 v7, v6, v5, vcc
	v_cvt_f64_f32_e32 v[5:6], v11
	v_lshrrev_b32_e32 v10, 16, v10
	v_and_or_b32 v7, v10, s6, v7
	v_and_b32_e32 v1, 0xffff, v1
	v_mul_f64 v[5:6], v[5:6], s[2:3]
	v_lshl_or_b32 v1, v7, 16, v1
	v_mov_b32_e32 v7, s4
	v_add_co_u32_e32 v3, vcc, s5, v3
	v_addc_co_u32_e32 v4, vcc, v4, v7, vcc
	global_store_dword v[3:4], v1, off
	v_and_or_b32 v1, v6, s7, v5
	v_cmp_ne_u32_e32 vcc, 0, v1
	v_cndmask_b32_e64 v1, 0, 1, vcc
	v_lshrrev_b32_e32 v5, 8, v6
	v_bfe_u32 v7, v6, 20, 11
	v_and_or_b32 v5, v5, s10, v1
	v_sub_u32_e32 v10, 0x3f1, v7
	v_or_b32_e32 v1, 0x1000, v5
	v_med3_i32 v10, v10, 0, 13
	v_lshrrev_b32_e32 v11, v10, v1
	v_mul_f16_sdwa v0, v132, v0 dst_sel:DWORD dst_unused:UNUSED_PAD src0_sel:WORD_1 src1_sel:DWORD
	v_lshlrev_b32_e32 v10, v10, v11
	v_fma_f16 v0, v132, v9, -v0
	v_cmp_ne_u32_e32 vcc, v10, v1
	v_cvt_f32_f16_e32 v0, v0
	v_cndmask_b32_e64 v1, 0, 1, vcc
	v_add_u32_e32 v7, 0xfffffc10, v7
	v_or_b32_e32 v1, v11, v1
	v_lshl_or_b32 v10, v7, 12, v5
	v_cmp_gt_i32_e32 vcc, 1, v7
	v_cndmask_b32_e32 v1, v10, v1, vcc
	v_and_b32_e32 v10, 7, v1
	v_lshrrev_b32_e32 v9, 2, v1
	v_cvt_f64_f32_e32 v[0:1], v0
	v_cmp_lt_i32_e32 vcc, 5, v10
	v_cmp_eq_u32_e64 s[0:1], 3, v10
	s_or_b64 vcc, s[0:1], vcc
	v_mul_f64 v[0:1], v[0:1], s[2:3]
	v_addc_co_u32_e32 v9, vcc, 0, v9, vcc
	v_cmp_gt_i32_e32 vcc, 31, v7
	v_cndmask_b32_e32 v9, v2, v9, vcc
	v_cmp_ne_u32_e32 vcc, 0, v5
	v_cndmask_b32_e64 v5, 0, 1, vcc
	v_lshl_or_b32 v5, v5, 9, v2
	v_cmp_eq_u32_e32 vcc, s11, v7
	v_and_or_b32 v0, v1, s7, v0
	v_cndmask_b32_e32 v5, v9, v5, vcc
	v_lshrrev_b32_e32 v6, 16, v6
	v_cmp_ne_u32_e32 vcc, 0, v0
	v_and_or_b32 v7, v6, s6, v5
	v_cndmask_b32_e64 v0, 0, 1, vcc
	v_lshrrev_b32_e32 v5, 8, v1
	v_bfe_u32 v6, v1, 20, 11
	v_and_or_b32 v0, v5, s10, v0
	v_sub_u32_e32 v9, 0x3f1, v6
	v_or_b32_e32 v5, 0x1000, v0
	v_med3_i32 v9, v9, 0, 13
	v_lshrrev_b32_e32 v10, v9, v5
	v_lshlrev_b32_e32 v9, v9, v10
	v_cmp_ne_u32_e32 vcc, v9, v5
	v_cndmask_b32_e64 v5, 0, 1, vcc
	v_add_u32_e32 v6, 0xfffffc10, v6
	v_or_b32_e32 v5, v10, v5
	v_lshl_or_b32 v9, v6, 12, v0
	v_cmp_gt_i32_e32 vcc, 1, v6
	v_cndmask_b32_e32 v5, v9, v5, vcc
	v_and_b32_e32 v9, 7, v5
	v_cmp_lt_i32_e32 vcc, 5, v9
	v_cmp_eq_u32_e64 s[0:1], 3, v9
	v_lshrrev_b32_e32 v9, 16, v8
	v_lshrrev_b32_e32 v5, 2, v5
	s_or_b64 vcc, s[0:1], vcc
	v_mul_f16_sdwa v10, v130, v9 dst_sel:DWORD dst_unused:UNUSED_PAD src0_sel:WORD_1 src1_sel:DWORD
	v_addc_co_u32_e32 v5, vcc, 0, v5, vcc
	v_fma_f16 v10, v130, v8, v10
	v_cmp_gt_i32_e32 vcc, 31, v6
	v_cvt_f32_f16_e32 v10, v10
	v_cndmask_b32_e32 v5, v2, v5, vcc
	v_cmp_ne_u32_e32 vcc, 0, v0
	v_cndmask_b32_e64 v0, 0, 1, vcc
	v_lshl_or_b32 v0, v0, 9, v2
	v_cmp_eq_u32_e32 vcc, s11, v6
	v_cndmask_b32_e32 v0, v5, v0, vcc
	v_cvt_f64_f32_e32 v[5:6], v10
	v_lshrrev_b32_e32 v1, 16, v1
	v_and_or_b32 v10, v1, s6, v0
	v_add_co_u32_e32 v3, vcc, s8, v3
	v_mul_f64 v[0:1], v[5:6], s[2:3]
	v_mov_b32_e32 v6, s9
	v_and_b32_e32 v7, 0xffff, v7
	v_addc_co_u32_e32 v4, vcc, v4, v6, vcc
	v_lshl_or_b32 v5, v10, 16, v7
	global_store_dword v[3:4], v5, off
	v_mul_f16_sdwa v8, v130, v8 dst_sel:DWORD dst_unused:UNUSED_PAD src0_sel:WORD_1 src1_sel:DWORD
	v_and_or_b32 v0, v1, s7, v0
	v_cmp_ne_u32_e32 vcc, 0, v0
	v_cndmask_b32_e64 v0, 0, 1, vcc
	v_lshrrev_b32_e32 v5, 8, v1
	v_bfe_u32 v6, v1, 20, 11
	v_and_or_b32 v0, v5, s10, v0
	v_sub_u32_e32 v7, 0x3f1, v6
	v_or_b32_e32 v5, 0x1000, v0
	v_med3_i32 v7, v7, 0, 13
	v_lshrrev_b32_e32 v10, v7, v5
	v_lshlrev_b32_e32 v7, v7, v10
	v_cmp_ne_u32_e32 vcc, v7, v5
	v_fma_f16 v8, v130, v9, -v8
	v_cndmask_b32_e64 v5, 0, 1, vcc
	v_add_u32_e32 v7, 0xfffffc10, v6
	v_cvt_f32_f16_e32 v8, v8
	v_or_b32_e32 v5, v10, v5
	v_lshl_or_b32 v6, v7, 12, v0
	v_cmp_gt_i32_e32 vcc, 1, v7
	v_cndmask_b32_e32 v5, v6, v5, vcc
	v_and_b32_e32 v6, 7, v5
	v_cmp_lt_i32_e32 vcc, 5, v6
	v_cmp_eq_u32_e64 s[0:1], 3, v6
	v_lshrrev_b32_e32 v9, 2, v5
	v_cvt_f64_f32_e32 v[5:6], v8
	s_or_b64 vcc, s[0:1], vcc
	v_addc_co_u32_e32 v8, vcc, 0, v9, vcc
	v_mul_f64 v[5:6], v[5:6], s[2:3]
	v_cmp_gt_i32_e32 vcc, 31, v7
	v_cndmask_b32_e32 v8, v2, v8, vcc
	v_cmp_ne_u32_e32 vcc, 0, v0
	v_cndmask_b32_e64 v0, 0, 1, vcc
	v_lshl_or_b32 v0, v0, 9, v2
	v_cmp_eq_u32_e32 vcc, s11, v7
	v_cndmask_b32_e32 v0, v8, v0, vcc
	v_lshrrev_b32_e32 v1, 16, v1
	v_and_or_b32 v7, v1, s6, v0
	v_and_or_b32 v0, v6, s7, v5
	v_cmp_ne_u32_e32 vcc, 0, v0
	v_cndmask_b32_e64 v0, 0, 1, vcc
	v_lshrrev_b32_e32 v1, 8, v6
	v_bfe_u32 v5, v6, 20, 11
	v_and_or_b32 v0, v1, s10, v0
	v_sub_u32_e32 v8, 0x3f1, v5
	v_or_b32_e32 v1, 0x1000, v0
	v_med3_i32 v8, v8, 0, 13
	v_lshrrev_b32_e32 v9, v8, v1
	v_lshlrev_b32_e32 v8, v8, v9
	v_cmp_ne_u32_e32 vcc, v8, v1
	v_cndmask_b32_e64 v1, 0, 1, vcc
	v_add_u32_e32 v5, 0xfffffc10, v5
	v_or_b32_e32 v1, v9, v1
	v_lshl_or_b32 v8, v5, 12, v0
	v_cmp_gt_i32_e32 vcc, 1, v5
	v_cndmask_b32_e32 v1, v8, v1, vcc
	v_and_b32_e32 v8, 7, v1
	v_cmp_lt_i32_e32 vcc, 5, v8
	v_cmp_eq_u32_e64 s[0:1], 3, v8
	ds_read_b32 v8, v129 offset:25272
	v_lshrrev_b32_e32 v1, 2, v1
	s_or_b64 vcc, s[0:1], vcc
	v_addc_co_u32_e32 v1, vcc, 0, v1, vcc
	s_waitcnt lgkmcnt(0)
	v_lshrrev_b32_e32 v9, 16, v8
	v_mul_f16_sdwa v10, v131, v9 dst_sel:DWORD dst_unused:UNUSED_PAD src0_sel:WORD_1 src1_sel:DWORD
	v_fma_f16 v10, v131, v8, v10
	v_cmp_gt_i32_e32 vcc, 31, v5
	v_cvt_f32_f16_e32 v10, v10
	v_cndmask_b32_e32 v1, v2, v1, vcc
	v_cmp_ne_u32_e32 vcc, 0, v0
	v_cndmask_b32_e64 v0, 0, 1, vcc
	v_lshl_or_b32 v0, v0, 9, v2
	v_cmp_eq_u32_e32 vcc, s11, v5
	v_cndmask_b32_e32 v5, v1, v0, vcc
	v_cvt_f64_f32_e32 v[0:1], v10
	v_lshrrev_b32_e32 v6, 16, v6
	v_and_or_b32 v5, v6, s6, v5
	v_and_b32_e32 v6, 0xffff, v7
	v_mul_f64 v[0:1], v[0:1], s[2:3]
	v_lshl_or_b32 v5, v5, 16, v6
	v_mov_b32_e32 v6, s4
	v_add_co_u32_e32 v3, vcc, s5, v3
	v_addc_co_u32_e32 v4, vcc, v4, v6, vcc
	global_store_dword v[3:4], v5, off
	v_and_or_b32 v0, v1, s7, v0
	v_cmp_ne_u32_e32 vcc, 0, v0
	v_cndmask_b32_e64 v0, 0, 1, vcc
	v_lshrrev_b32_e32 v5, 8, v1
	v_bfe_u32 v6, v1, 20, 11
	v_and_or_b32 v0, v5, s10, v0
	v_sub_u32_e32 v7, 0x3f1, v6
	v_or_b32_e32 v5, 0x1000, v0
	v_med3_i32 v7, v7, 0, 13
	v_lshrrev_b32_e32 v10, v7, v5
	v_lshlrev_b32_e32 v7, v7, v10
	v_mul_f16_sdwa v8, v131, v8 dst_sel:DWORD dst_unused:UNUSED_PAD src0_sel:WORD_1 src1_sel:DWORD
	v_cmp_ne_u32_e32 vcc, v7, v5
	v_fma_f16 v8, v131, v9, -v8
	v_cndmask_b32_e64 v5, 0, 1, vcc
	v_add_u32_e32 v7, 0xfffffc10, v6
	v_cvt_f32_f16_e32 v8, v8
	v_or_b32_e32 v5, v10, v5
	v_lshl_or_b32 v6, v7, 12, v0
	v_cmp_gt_i32_e32 vcc, 1, v7
	v_cndmask_b32_e32 v5, v6, v5, vcc
	v_and_b32_e32 v6, 7, v5
	v_cmp_lt_i32_e32 vcc, 5, v6
	v_cmp_eq_u32_e64 s[0:1], 3, v6
	v_lshrrev_b32_e32 v9, 2, v5
	v_cvt_f64_f32_e32 v[5:6], v8
	s_or_b64 vcc, s[0:1], vcc
	v_addc_co_u32_e32 v8, vcc, 0, v9, vcc
	v_mul_f64 v[5:6], v[5:6], s[2:3]
	v_cmp_gt_i32_e32 vcc, 31, v7
	v_cndmask_b32_e32 v8, v2, v8, vcc
	v_cmp_ne_u32_e32 vcc, 0, v0
	v_cndmask_b32_e64 v0, 0, 1, vcc
	v_lshl_or_b32 v0, v0, 9, v2
	v_cmp_eq_u32_e32 vcc, s11, v7
	v_cndmask_b32_e32 v0, v8, v0, vcc
	v_lshrrev_b32_e32 v1, 16, v1
	v_and_or_b32 v0, v1, s6, v0
	v_and_or_b32 v1, v6, s7, v5
	v_cmp_ne_u32_e32 vcc, 0, v1
	v_cndmask_b32_e64 v1, 0, 1, vcc
	v_lshrrev_b32_e32 v5, 8, v6
	v_bfe_u32 v7, v6, 20, 11
	v_and_or_b32 v1, v5, s10, v1
	v_sub_u32_e32 v8, 0x3f1, v7
	v_or_b32_e32 v5, 0x1000, v1
	v_med3_i32 v8, v8, 0, 13
	v_lshrrev_b32_e32 v9, v8, v5
	v_lshlrev_b32_e32 v8, v8, v9
	v_cmp_ne_u32_e32 vcc, v8, v5
	v_cndmask_b32_e64 v5, 0, 1, vcc
	v_add_u32_e32 v7, 0xfffffc10, v7
	v_or_b32_e32 v5, v9, v5
	v_lshl_or_b32 v8, v7, 12, v1
	v_cmp_gt_i32_e32 vcc, 1, v7
	v_cndmask_b32_e32 v5, v8, v5, vcc
	v_and_b32_e32 v8, 7, v5
	v_cmp_lt_i32_e32 vcc, 5, v8
	v_cmp_eq_u32_e64 s[0:1], 3, v8
	v_lshrrev_b32_e32 v5, 2, v5
	s_or_b64 vcc, s[0:1], vcc
	v_addc_co_u32_e32 v5, vcc, 0, v5, vcc
	v_cmp_gt_i32_e32 vcc, 31, v7
	v_cndmask_b32_e32 v5, v2, v5, vcc
	v_cmp_ne_u32_e32 vcc, 0, v1
	v_cndmask_b32_e64 v1, 0, 1, vcc
	v_lshl_or_b32 v1, v1, 9, v2
	v_cmp_eq_u32_e32 vcc, s11, v7
	v_cndmask_b32_e32 v1, v5, v1, vcc
	v_lshrrev_b32_e32 v2, 16, v6
	v_and_or_b32 v1, v2, s6, v1
	v_and_b32_e32 v0, 0xffff, v0
	v_lshl_or_b32 v2, v1, 16, v0
	v_mov_b32_e32 v1, s4
	v_add_co_u32_e32 v0, vcc, s5, v3
	v_addc_co_u32_e32 v1, vcc, v4, v1, vcc
	global_store_dword v[0:1], v2, off
.LBB0_2:
	s_endpgm
	.section	.rodata,"a",@progbits
	.p2align	6, 0x0
	.amdhsa_kernel bluestein_single_back_len6561_dim1_half_op_CI_CI
		.amdhsa_group_segment_fixed_size 26244
		.amdhsa_private_segment_fixed_size 0
		.amdhsa_kernarg_size 104
		.amdhsa_user_sgpr_count 6
		.amdhsa_user_sgpr_private_segment_buffer 1
		.amdhsa_user_sgpr_dispatch_ptr 0
		.amdhsa_user_sgpr_queue_ptr 0
		.amdhsa_user_sgpr_kernarg_segment_ptr 1
		.amdhsa_user_sgpr_dispatch_id 0
		.amdhsa_user_sgpr_flat_scratch_init 0
		.amdhsa_user_sgpr_private_segment_size 0
		.amdhsa_uses_dynamic_stack 0
		.amdhsa_system_sgpr_private_segment_wavefront_offset 0
		.amdhsa_system_sgpr_workgroup_id_x 1
		.amdhsa_system_sgpr_workgroup_id_y 0
		.amdhsa_system_sgpr_workgroup_id_z 0
		.amdhsa_system_sgpr_workgroup_info 0
		.amdhsa_system_vgpr_workitem_id 0
		.amdhsa_next_free_vgpr 256
		.amdhsa_next_free_sgpr 20
		.amdhsa_reserve_vcc 1
		.amdhsa_reserve_flat_scratch 0
		.amdhsa_float_round_mode_32 0
		.amdhsa_float_round_mode_16_64 0
		.amdhsa_float_denorm_mode_32 3
		.amdhsa_float_denorm_mode_16_64 3
		.amdhsa_dx10_clamp 1
		.amdhsa_ieee_mode 1
		.amdhsa_fp16_overflow 0
		.amdhsa_exception_fp_ieee_invalid_op 0
		.amdhsa_exception_fp_denorm_src 0
		.amdhsa_exception_fp_ieee_div_zero 0
		.amdhsa_exception_fp_ieee_overflow 0
		.amdhsa_exception_fp_ieee_underflow 0
		.amdhsa_exception_fp_ieee_inexact 0
		.amdhsa_exception_int_div_zero 0
	.end_amdhsa_kernel
	.text
.Lfunc_end0:
	.size	bluestein_single_back_len6561_dim1_half_op_CI_CI, .Lfunc_end0-bluestein_single_back_len6561_dim1_half_op_CI_CI
                                        ; -- End function
	.section	.AMDGPU.csdata,"",@progbits
; Kernel info:
; codeLenInByte = 50668
; NumSgprs: 24
; NumVgprs: 256
; ScratchSize: 0
; MemoryBound: 0
; FloatMode: 240
; IeeeMode: 1
; LDSByteSize: 26244 bytes/workgroup (compile time only)
; SGPRBlocks: 2
; VGPRBlocks: 63
; NumSGPRsForWavesPerEU: 24
; NumVGPRsForWavesPerEU: 256
; Occupancy: 1
; WaveLimiterHint : 1
; COMPUTE_PGM_RSRC2:SCRATCH_EN: 0
; COMPUTE_PGM_RSRC2:USER_SGPR: 6
; COMPUTE_PGM_RSRC2:TRAP_HANDLER: 0
; COMPUTE_PGM_RSRC2:TGID_X_EN: 1
; COMPUTE_PGM_RSRC2:TGID_Y_EN: 0
; COMPUTE_PGM_RSRC2:TGID_Z_EN: 0
; COMPUTE_PGM_RSRC2:TIDIG_COMP_CNT: 0
	.type	__hip_cuid_21cca55ff45f4bf6,@object ; @__hip_cuid_21cca55ff45f4bf6
	.section	.bss,"aw",@nobits
	.globl	__hip_cuid_21cca55ff45f4bf6
__hip_cuid_21cca55ff45f4bf6:
	.byte	0                               ; 0x0
	.size	__hip_cuid_21cca55ff45f4bf6, 1

	.ident	"AMD clang version 19.0.0git (https://github.com/RadeonOpenCompute/llvm-project roc-6.4.0 25133 c7fe45cf4b819c5991fe208aaa96edf142730f1d)"
	.section	".note.GNU-stack","",@progbits
	.addrsig
	.addrsig_sym __hip_cuid_21cca55ff45f4bf6
	.amdgpu_metadata
---
amdhsa.kernels:
  - .args:
      - .actual_access:  read_only
        .address_space:  global
        .offset:         0
        .size:           8
        .value_kind:     global_buffer
      - .actual_access:  read_only
        .address_space:  global
        .offset:         8
        .size:           8
        .value_kind:     global_buffer
      - .actual_access:  read_only
        .address_space:  global
        .offset:         16
        .size:           8
        .value_kind:     global_buffer
      - .actual_access:  read_only
        .address_space:  global
        .offset:         24
        .size:           8
        .value_kind:     global_buffer
      - .actual_access:  read_only
        .address_space:  global
        .offset:         32
        .size:           8
        .value_kind:     global_buffer
      - .offset:         40
        .size:           8
        .value_kind:     by_value
      - .address_space:  global
        .offset:         48
        .size:           8
        .value_kind:     global_buffer
      - .address_space:  global
        .offset:         56
        .size:           8
        .value_kind:     global_buffer
      - .address_space:  global
        .offset:         64
        .size:           8
        .value_kind:     global_buffer
      - .address_space:  global
        .offset:         72
        .size:           8
        .value_kind:     global_buffer
      - .offset:         80
        .size:           4
        .value_kind:     by_value
      - .address_space:  global
        .offset:         88
        .size:           8
        .value_kind:     global_buffer
      - .address_space:  global
        .offset:         96
        .size:           8
        .value_kind:     global_buffer
    .group_segment_fixed_size: 26244
    .kernarg_segment_align: 8
    .kernarg_segment_size: 104
    .language:       OpenCL C
    .language_version:
      - 2
      - 0
    .max_flat_workgroup_size: 243
    .name:           bluestein_single_back_len6561_dim1_half_op_CI_CI
    .private_segment_fixed_size: 0
    .sgpr_count:     24
    .sgpr_spill_count: 0
    .symbol:         bluestein_single_back_len6561_dim1_half_op_CI_CI.kd
    .uniform_work_group_size: 1
    .uses_dynamic_stack: false
    .vgpr_count:     256
    .vgpr_spill_count: 0
    .wavefront_size: 64
amdhsa.target:   amdgcn-amd-amdhsa--gfx906
amdhsa.version:
  - 1
  - 2
...

	.end_amdgpu_metadata
